;; amdgpu-corpus repo=ROCm/rocFFT kind=compiled arch=gfx1201 opt=O3
	.text
	.amdgcn_target "amdgcn-amd-amdhsa--gfx1201"
	.amdhsa_code_object_version 6
	.protected	bluestein_single_back_len819_dim1_half_op_CI_CI ; -- Begin function bluestein_single_back_len819_dim1_half_op_CI_CI
	.globl	bluestein_single_back_len819_dim1_half_op_CI_CI
	.p2align	8
	.type	bluestein_single_back_len819_dim1_half_op_CI_CI,@function
bluestein_single_back_len819_dim1_half_op_CI_CI: ; @bluestein_single_back_len819_dim1_half_op_CI_CI
; %bb.0:
	s_load_b128 s[4:7], s[0:1], 0x28
	v_mul_u32_u24_e32 v1, 0x231, v0
	s_mov_b32 s2, exec_lo
	v_mov_b32_e32 v17, 0
	s_delay_alu instid0(VALU_DEP_2) | instskip(NEXT) | instid1(VALU_DEP_1)
	v_lshrrev_b32_e32 v1, 16, v1
	v_add_nc_u32_e32 v16, ttmp9, v1
	s_wait_kmcnt 0x0
	s_delay_alu instid0(VALU_DEP_1)
	v_cmpx_gt_u64_e64 s[4:5], v[16:17]
	s_cbranch_execz .LBB0_23
; %bb.1:
	s_clause 0x1
	s_load_b64 s[14:15], s[0:1], 0x0
	s_load_b64 s[12:13], s[0:1], 0x38
	v_mul_lo_u16 v1, 0x75, v1
	s_delay_alu instid0(VALU_DEP_1) | instskip(NEXT) | instid1(VALU_DEP_1)
	v_sub_nc_u16 v0, v0, v1
	v_and_b32_e32 v32, 0xffff, v0
	v_cmp_gt_u16_e32 vcc_lo, 0x5b, v0
	s_delay_alu instid0(VALU_DEP_2)
	v_lshlrev_b32_e32 v31, 2, v32
	s_and_saveexec_b32 s3, vcc_lo
	s_cbranch_execz .LBB0_3
; %bb.2:
	s_load_b64 s[4:5], s[0:1], 0x18
	s_wait_kmcnt 0x0
	s_load_b128 s[8:11], s[4:5], 0x0
	s_wait_kmcnt 0x0
	v_mad_co_u64_u32 v[0:1], null, s10, v16, 0
	v_mad_co_u64_u32 v[2:3], null, s8, v32, 0
	s_mul_u64 s[4:5], s[8:9], 0x16c
	s_delay_alu instid0(VALU_DEP_1) | instskip(NEXT) | instid1(VALU_DEP_1)
	v_mad_co_u64_u32 v[4:5], null, s11, v16, v[1:2]
	v_mad_co_u64_u32 v[5:6], null, s9, v32, v[3:4]
	v_mov_b32_e32 v1, v4
	s_delay_alu instid0(VALU_DEP_1) | instskip(NEXT) | instid1(VALU_DEP_3)
	v_lshlrev_b64_e32 v[0:1], 2, v[0:1]
	v_mov_b32_e32 v3, v5
	s_clause 0x8
	global_load_b32 v4, v31, s[14:15]
	global_load_b32 v5, v31, s[14:15] offset:364
	global_load_b32 v6, v31, s[14:15] offset:728
	;; [unrolled: 1-line block ×8, first 2 shown]
	v_lshlrev_b64_e32 v[2:3], 2, v[2:3]
	v_add_co_u32 v0, s2, s6, v0
	s_delay_alu instid0(VALU_DEP_1) | instskip(NEXT) | instid1(VALU_DEP_2)
	v_add_co_ci_u32_e64 v1, s2, s7, v1, s2
	v_add_co_u32 v0, s2, v0, v2
	s_wait_alu 0xf1ff
	s_delay_alu instid0(VALU_DEP_2) | instskip(SKIP_1) | instid1(VALU_DEP_2)
	v_add_co_ci_u32_e64 v1, s2, v1, v3, s2
	s_wait_alu 0xfffe
	v_add_co_u32 v2, s2, v0, s4
	s_wait_alu 0xf1ff
	s_delay_alu instid0(VALU_DEP_2)
	v_add_co_ci_u32_e64 v3, s2, s5, v1, s2
	s_clause 0x1
	global_load_b32 v13, v[0:1], off
	global_load_b32 v14, v[2:3], off
	v_add_co_u32 v0, s2, v2, s4
	s_wait_alu 0xf1ff
	v_add_co_ci_u32_e64 v1, s2, s5, v3, s2
	s_delay_alu instid0(VALU_DEP_2) | instskip(SKIP_1) | instid1(VALU_DEP_2)
	v_add_co_u32 v2, s2, v0, s4
	s_wait_alu 0xf1ff
	v_add_co_ci_u32_e64 v3, s2, s5, v1, s2
	s_clause 0x1
	global_load_b32 v15, v[0:1], off
	global_load_b32 v17, v[2:3], off
	v_add_co_u32 v0, s2, v2, s4
	s_wait_alu 0xf1ff
	v_add_co_ci_u32_e64 v1, s2, s5, v3, s2
	s_delay_alu instid0(VALU_DEP_2) | instskip(SKIP_1) | instid1(VALU_DEP_2)
	v_add_co_u32 v2, s2, v0, s4
	s_wait_alu 0xf1ff
	v_add_co_ci_u32_e64 v3, s2, s5, v1, s2
	global_load_b32 v18, v[0:1], off
	v_add_co_u32 v0, s2, v2, s4
	s_wait_alu 0xf1ff
	v_add_co_ci_u32_e64 v1, s2, s5, v3, s2
	global_load_b32 v19, v[2:3], off
	;; [unrolled: 4-line block ×4, first 2 shown]
	global_load_b32 v0, v[0:1], off
	v_add_nc_u32_e32 v1, 0x200, v31
	s_wait_loadcnt 0x11
	v_lshrrev_b32_e32 v3, 16, v4
	s_wait_loadcnt 0x10
	v_lshrrev_b32_e32 v21, 16, v5
	;; [unrolled: 2-line block ×10, first 2 shown]
	v_mul_f16_e32 v29, v3, v13
	s_wait_loadcnt 0x7
	v_lshrrev_b32_e32 v30, 16, v14
	v_mul_f16_e32 v34, v21, v14
	v_mul_f16_e32 v3, v3, v25
	v_fma_f16 v25, v4, v25, -v29
	s_delay_alu instid0(VALU_DEP_2)
	v_fmac_f16_e32 v3, v4, v13
	v_mul_f16_e32 v4, v21, v30
	v_fma_f16 v21, v5, v30, -v34
	s_wait_loadcnt 0x6
	v_lshrrev_b32_e32 v13, 16, v15
	v_mul_f16_e32 v29, v22, v15
	v_fmac_f16_e32 v4, v5, v14
	s_wait_loadcnt 0x5
	v_lshrrev_b32_e32 v14, 16, v17
	v_pack_b32_f16 v3, v3, v25
	v_mul_f16_e32 v5, v22, v13
	v_fma_f16 v13, v6, v13, -v29
	v_mul_f16_e32 v22, v23, v17
	v_pack_b32_f16 v4, v4, v21
	s_delay_alu instid0(VALU_DEP_4)
	v_fmac_f16_e32 v5, v6, v15
	v_mul_f16_e32 v6, v23, v14
	s_wait_loadcnt 0x4
	v_lshrrev_b32_e32 v15, 16, v18
	v_fma_f16 v14, v7, v14, -v22
	v_mul_f16_e32 v21, v24, v18
	v_pack_b32_f16 v5, v5, v13
	v_fmac_f16_e32 v6, v7, v17
	v_mul_f16_e32 v7, v24, v15
	s_wait_loadcnt 0x3
	v_lshrrev_b32_e32 v13, 16, v19
	v_fma_f16 v15, v8, v15, -v21
	v_mul_f16_e32 v17, v26, v19
	v_pack_b32_f16 v6, v6, v14
	;; [unrolled: 7-line block ×3, first 2 shown]
	v_fmac_f16_e32 v8, v9, v19
	s_wait_loadcnt 0x1
	v_lshrrev_b32_e32 v15, 16, v2
	s_wait_loadcnt 0x0
	v_lshrrev_b32_e32 v18, 16, v0
	v_mul_f16_e32 v9, v27, v14
	v_fma_f16 v14, v10, v14, -v17
	v_mul_f16_e32 v17, v28, v2
	v_pack_b32_f16 v8, v8, v13
	v_mul_f16_e32 v13, v28, v15
	v_mul_f16_e32 v19, v33, v18
	v_mul_f16_e32 v21, v33, v0
	v_fmac_f16_e32 v9, v10, v20
	v_fma_f16 v10, v11, v15, -v17
	v_fmac_f16_e32 v13, v11, v2
	v_fmac_f16_e32 v19, v12, v0
	v_fma_f16 v0, v12, v18, -v21
	v_add_nc_u32_e32 v2, 0x400, v31
	v_pack_b32_f16 v9, v9, v14
	v_pack_b32_f16 v10, v13, v10
	v_add_nc_u32_e32 v11, 0x800, v31
	v_pack_b32_f16 v0, v19, v0
	ds_store_2addr_b32 v31, v3, v4 offset1:91
	ds_store_2addr_b32 v1, v5, v6 offset0:54 offset1:145
	ds_store_2addr_b32 v2, v7, v8 offset0:108 offset1:199
	;; [unrolled: 1-line block ×3, first 2 shown]
	ds_store_b32 v31, v0 offset:2912
.LBB0_3:
	s_or_b32 exec_lo, exec_lo, s3
	s_clause 0x1
	s_load_b64 s[4:5], s[0:1], 0x20
	s_load_b64 s[2:3], s[0:1], 0x8
	v_dual_mov_b32 v1, 0 :: v_dual_mov_b32 v4, 0
	v_dual_mov_b32 v5, 0 :: v_dual_mov_b32 v2, 0
	global_wb scope:SCOPE_SE
	s_wait_dscnt 0x0
	s_wait_kmcnt 0x0
	s_barrier_signal -1
	s_barrier_wait -1
	global_inv scope:SCOPE_SE
                                        ; implicit-def: $vgpr7
                                        ; implicit-def: $vgpr8
	s_and_saveexec_b32 s0, vcc_lo
	s_cbranch_execz .LBB0_5
; %bb.4:
	v_add_nc_u32_e32 v2, 0x400, v31
	v_add_nc_u32_e32 v4, 0x800, v31
	;; [unrolled: 1-line block ×3, first 2 shown]
	ds_load_2addr_b32 v[0:1], v31 offset1:91
	ds_load_2addr_b32 v[2:3], v2 offset0:108 offset1:199
	ds_load_2addr_b32 v[6:7], v4 offset0:34 offset1:125
	ds_load_b32 v8, v31 offset:2912
	ds_load_2addr_b32 v[4:5], v5 offset0:54 offset1:145
.LBB0_5:
	s_wait_alu 0xfffe
	s_or_b32 exec_lo, exec_lo, s0
	s_wait_dscnt 0x0
	v_alignbit_b32 v9, v4, v1, 16
	v_alignbit_b32 v10, v7, v8, 16
	;; [unrolled: 1-line block ×4, first 2 shown]
	v_pk_add_f16 v8, v8, v1
	v_pk_add_f16 v13, v5, v6 neg_lo:[0,1] neg_hi:[0,1]
	v_pk_add_f16 v9, v9, v10 neg_lo:[0,1] neg_hi:[0,1]
	v_pk_add_f16 v7, v7, v4
	v_pk_add_f16 v1, v11, v12 neg_lo:[0,1] neg_hi:[0,1]
	v_pk_add_f16 v4, v2, v3 neg_lo:[0,1] neg_hi:[0,1]
	v_pk_add_f16 v10, v3, v2
	v_pk_mul_f16 v12, 0x3aee, v13 op_sel_hi:[0,1]
	v_pk_mul_f16 v11, 0x3be13924, v9
	v_pk_fma_f16 v13, 0x3a21, v8, v0 op_sel_hi:[0,1,1]
	v_pk_mul_f16 v14, 0x3924, v4 op_sel_hi:[0,1]
	v_bfi_b32 v15, 0xffff, v9, v1
	v_pk_fma_f16 v18, 0x3a21, v10, v0 op_sel_hi:[0,1,1]
	v_pk_fma_f16 v17, 0x39243be1, v1, v11
	v_pk_add_f16 v11, v6, v5
	v_pk_fma_f16 v5, 0x318f, v7, v13 op_sel_hi:[0,1,1]
	v_pk_fma_f16 v6, 0x3be1, v15, v14 op_sel:[0,0,1] op_sel_hi:[0,1,0] neg_lo:[0,0,1] neg_hi:[0,0,1]
	v_pk_fma_f16 v14, 0x318f, v8, v18 op_sel_hi:[0,1,1]
	v_pk_add_f16 v13, v17, v12 op_sel:[0,1] op_sel_hi:[1,0]
	v_pk_mul_f16 v15, 0x3579, v4 op_sel_hi:[0,1]
	v_pk_fma_f16 v5, v11, 0.5, v5 op_sel_hi:[1,0,1] neg_lo:[1,0,0] neg_hi:[1,0,0]
	v_pk_add_f16 v6, v6, v12 op_sel:[0,1] op_sel_hi:[1,0] neg_lo:[0,1] neg_hi:[0,1]
	v_bfi_b32 v17, 0xffff, v1, v9
	v_pk_fma_f16 v14, v11, 0.5, v14 op_sel_hi:[1,0,1] neg_lo:[1,0,0] neg_hi:[1,0,0]
	v_pk_add_f16 v15, v13, v15 op_sel:[0,1] op_sel_hi:[1,0]
	v_pk_fma_f16 v5, 0x3b84, v10, v5 op_sel_hi:[0,1,1] neg_lo:[0,1,0] neg_hi:[0,1,0]
	v_mul_lo_u16 v33, v32, 9
	v_pk_fma_f16 v17, 0x3579, v17, v6 op_sel_hi:[0,1,1]
	v_pk_fma_f16 v6, 0x3b84, v7, v14 op_sel_hi:[0,1,1] neg_lo:[0,1,0] neg_hi:[0,1,0]
	v_lshrrev_b32_e32 v18, 16, v15
	v_pk_add_f16 v13, v5, v15 neg_lo:[0,1] neg_hi:[0,1]
	v_pk_add_f16 v14, v5, v15
	v_lshrrev_b32_e32 v19, 16, v17
	v_pk_add_f16 v5, v6, v17 neg_lo:[0,1] neg_hi:[0,1]
	v_pk_add_f16 v6, v6, v17
	v_lshrrev_b32_e32 v68, 16, v13
	v_fma_f16 v21, -2.0, v15, v14
	global_wb scope:SCOPE_SE
	v_lshrrev_b32_e32 v69, 16, v5
	v_fma_f16 v24, -2.0, v17, v6
	v_fmac_f16_e32 v68, 2.0, v18
	s_barrier_signal -1
	s_barrier_wait -1
	v_fmac_f16_e32 v69, 2.0, v19
	global_inv scope:SCOPE_SE
	s_and_saveexec_b32 s0, vcc_lo
	s_cbranch_execz .LBB0_7
; %bb.6:
	v_lshrrev_b32_e32 v15, 16, v4
	v_fmamk_f16 v19, v7, 0x3a21, v0
	v_lshrrev_b32_e32 v25, 16, v7
	v_lshrrev_b32_e32 v26, 16, v0
	v_pk_mul_f16 v17, v11, 0.5 op_sel_hi:[1,0]
	v_mul_f16_e32 v22, 0x3be1, v15
	v_lshrrev_b32_e32 v18, 16, v12
	v_lshrrev_b32_e32 v23, 16, v9
	v_fmac_f16_e32 v19, 0x318f, v10
	v_mul_f16_e32 v27, 0x3be1, v4
	v_fma_f16 v22, v1, 0xb924, -v22
	v_lshrrev_b32_e32 v28, 16, v10
	v_fmac_f16_e32 v26, 0x3a21, v25
	v_sub_f16_e32 v19, v19, v17
	v_pk_add_f16 v7, v8, v7
	v_add_f16_e32 v18, v18, v22
	v_fma_f16 v22, v23, 0xb924, -v27
	v_lshrrev_b32_e32 v17, 16, v17
	v_fmac_f16_e32 v26, 0x318f, v28
	v_lshrrev_b32_e32 v20, 16, v1
	v_fmac_f16_e32 v19, 0xbb84, v8
	v_add_f16_e32 v12, v12, v22
	v_lshrrev_b32_e32 v22, 16, v8
	v_add_f16_e32 v8, v9, v15
	v_pk_add_f16 v15, v0, v11
	v_pk_add_f16 v10, v7, v10
	v_sub_f16_e32 v17, v26, v17
	v_add_f16_e32 v4, v20, v4
	v_sub_f16_e32 v1, v8, v1
	v_pk_add_f16 v7, v7, v11
	v_lshrrev_b32_e32 v8, 16, v15
	v_lshrrev_b32_e32 v11, 16, v10
	v_fmac_f16_e32 v18, 0x3579, v9
	v_fmac_f16_e32 v12, 0x3579, v20
	;; [unrolled: 1-line block ×3, first 2 shown]
	v_sub_f16_e32 v4, v4, v23
	v_pk_add_f16 v2, v7, v2
	v_fmac_f16_e32 v15, -0.5, v10
	v_fmac_f16_e32 v8, -0.5, v11
	v_add_f16_e32 v19, v19, v18
	v_bfi_b32 v13, 0xffff, v14, v13
	v_sub_f16_e32 v14, v17, v12
	v_mul_f16_e32 v17, 0x3aee, v1
	v_mul_f16_e32 v7, 0x3aee, v4
	v_pk_add_f16 v2, v3, v2
	v_fmac_f16_e32 v15, 0x3aee, v1
	v_fmac_f16_e32 v8, 0xbaee, v4
	v_and_b32_e32 v10, 0xffff, v33
	v_fma_f16 v9, -2.0, v18, v19
	v_fma_f16 v1, 2.0, v12, v14
	v_pk_add_f16 v0, v0, v2
	v_fma_f16 v2, -2.0, v17, v15
	v_fma_f16 v4, 2.0, v7, v8
	v_lshlrev_b32_e32 v3, 2, v10
	v_pack_b32_f16 v7, v15, v8
	v_bfi_b32 v5, 0xffff, v6, v5
	v_pack_b32_f16 v6, v19, v14
	v_pack_b32_f16 v1, v9, v1
	;; [unrolled: 1-line block ×3, first 2 shown]
	v_perm_b32 v4, v69, v24, 0x5040100
	v_perm_b32 v8, v68, v21, 0x5040100
	ds_store_2addr_b32 v3, v0, v13 offset1:1
	ds_store_2addr_b32 v3, v5, v7 offset0:2 offset1:3
	ds_store_2addr_b32 v3, v6, v1 offset0:4 offset1:5
	;; [unrolled: 1-line block ×3, first 2 shown]
	ds_store_b32 v3, v8 offset:32
.LBB0_7:
	s_wait_alu 0xfffe
	s_or_b32 exec_lo, exec_lo, s0
	v_and_b32_e32 v0, 0xff, v32
	s_load_b128 s[4:7], s[4:5], 0x0
	global_wb scope:SCOPE_SE
	s_wait_dscnt 0x0
	s_wait_kmcnt 0x0
	s_barrier_signal -1
	s_barrier_wait -1
	v_mul_lo_u16 v0, v0, 57
	global_inv scope:SCOPE_SE
	v_add_nc_u32_e32 v5, 0x200, v31
	v_cmp_gt_u16_e64 s0, 63, v32
                                        ; implicit-def: $vgpr75
                                        ; implicit-def: $vgpr77
                                        ; implicit-def: $vgpr76
                                        ; implicit-def: $vgpr74
                                        ; implicit-def: $vgpr78
	v_lshrrev_b16 v12, 9, v0
	s_delay_alu instid0(VALU_DEP_1) | instskip(SKIP_1) | instid1(VALU_DEP_2)
	v_mul_lo_u16 v0, v12, 9
	v_and_b32_e32 v12, 0xffff, v12
	v_sub_nc_u16 v0, v32, v0
	s_delay_alu instid0(VALU_DEP_2) | instskip(NEXT) | instid1(VALU_DEP_2)
	v_mul_u32_u24_e32 v12, 63, v12
	v_and_b32_e32 v13, 0xff, v0
	s_delay_alu instid0(VALU_DEP_1) | instskip(NEXT) | instid1(VALU_DEP_3)
	v_mul_u32_u24_e32 v0, 6, v13
	v_add_lshl_u32 v34, v12, v13, 2
	s_delay_alu instid0(VALU_DEP_2)
	v_lshlrev_b32_e32 v4, 2, v0
	s_clause 0x1
	global_load_b128 v[0:3], v4, s[2:3]
	global_load_b64 v[17:18], v4, s[2:3] offset:16
	v_add_nc_u32_e32 v4, 0x600, v31
	ds_load_2addr_b32 v[6:7], v31 offset1:117
	ds_load_b32 v14, v31 offset:2808
	ds_load_2addr_b32 v[8:9], v5 offset0:106 offset1:223
	ds_load_2addr_b32 v[10:11], v4 offset0:84 offset1:201
	global_wb scope:SCOPE_SE
	s_wait_loadcnt_dscnt 0x0
	s_barrier_signal -1
	s_barrier_wait -1
	global_inv scope:SCOPE_SE
	v_lshrrev_b32_e32 v19, 16, v7
	v_lshrrev_b32_e32 v20, 16, v14
	;; [unrolled: 1-line block ×13, first 2 shown]
	v_mul_f16_e32 v12, v19, v47
	v_mul_f16_e32 v13, v7, v47
	;; [unrolled: 1-line block ×12, first 2 shown]
	v_fma_f16 v7, v7, v0, -v12
	v_fmac_f16_e32 v13, v19, v0
	v_fma_f16 v8, v8, v1, -v27
	v_fmac_f16_e32 v28, v22, v1
	;; [unrolled: 2-line block ×6, first 2 shown]
	v_add_f16_e32 v14, v7, v12
	v_add_f16_e32 v19, v13, v40
	v_sub_f16_e32 v7, v7, v12
	v_sub_f16_e32 v12, v13, v40
	v_add_f16_e32 v13, v8, v11
	v_add_f16_e32 v20, v28, v38
	v_sub_f16_e32 v8, v8, v11
	v_sub_f16_e32 v11, v28, v38
	;; [unrolled: 4-line block ×4, first 2 shown]
	v_sub_f16_e32 v14, v14, v22
	v_sub_f16_e32 v19, v19, v23
	;; [unrolled: 1-line block ×4, first 2 shown]
	v_add_f16_e32 v29, v9, v8
	v_add_f16_e32 v30, v10, v11
	v_sub_f16_e32 v35, v9, v8
	v_sub_f16_e32 v36, v10, v11
	;; [unrolled: 1-line block ×3, first 2 shown]
	v_add_f16_e32 v22, v22, v25
	v_add_f16_e32 v23, v23, v26
	v_sub_f16_e32 v8, v8, v7
	v_sub_f16_e32 v9, v7, v9
	;; [unrolled: 1-line block ×3, first 2 shown]
	v_add_f16_e32 v7, v29, v7
	v_add_f16_e32 v12, v30, v12
	v_mul_f16_e32 v14, 0x3a52, v14
	v_mul_f16_e32 v25, 0x3a52, v19
	;; [unrolled: 1-line block ×6, first 2 shown]
	v_add_f16_e32 v19, v6, v22
	v_add_f16_e32 v53, v15, v23
	v_mul_f16_e32 v26, 0x2b26, v13
	v_mul_f16_e32 v36, 0x3b00, v8
	v_fmamk_f16 v6, v13, 0x2b26, v14
	v_fmamk_f16 v13, v20, 0x2b26, v25
	v_fma_f16 v20, v28, 0x39e0, -v29
	v_fmamk_f16 v29, v9, 0x3574, v30
	v_fmamk_f16 v38, v10, 0x3574, v35
	v_fma_f16 v11, v11, 0x3b00, -v35
	v_fma_f16 v10, v10, 0xb574, -v37
	v_fmamk_f16 v22, v22, 0xbcab, v19
	v_fmamk_f16 v23, v23, 0xbcab, v53
	v_fma_f16 v15, v27, 0x39e0, -v26
	v_fma_f16 v14, v27, 0xb9e0, -v14
	;; [unrolled: 1-line block ×5, first 2 shown]
	v_fmac_f16_e32 v29, 0x370e, v7
	v_fmac_f16_e32 v38, 0x370e, v12
	;; [unrolled: 1-line block ×4, first 2 shown]
	v_add_f16_e32 v6, v6, v22
	v_add_f16_e32 v12, v13, v23
	v_fmac_f16_e32 v8, 0x370e, v7
	v_fmac_f16_e32 v9, 0x370e, v7
	v_add_f16_e32 v13, v15, v22
	v_add_f16_e32 v14, v14, v22
	;; [unrolled: 1-line block ×5, first 2 shown]
	v_sub_f16_e32 v63, v12, v29
	v_add_f16_e32 v25, v10, v14
	v_sub_f16_e32 v65, v15, v9
	v_sub_f16_e32 v26, v13, v11
	v_add_f16_e32 v70, v8, v22
	v_add_f16_e32 v27, v11, v13
	v_sub_f16_e32 v71, v22, v8
	v_sub_f16_e32 v28, v14, v10
	v_add_f16_e32 v72, v9, v15
	v_sub_f16_e32 v23, v6, v38
	v_add_f16_e32 v73, v29, v12
	v_pack_b32_f16 v7, v19, v53
	v_pack_b32_f16 v6, v20, v63
	;; [unrolled: 1-line block ×7, first 2 shown]
	ds_store_2addr_b32 v34, v7, v6 offset1:9
	ds_store_2addr_b32 v34, v8, v9 offset0:18 offset1:27
	ds_store_2addr_b32 v34, v10, v11 offset0:36 offset1:45
	ds_store_b32 v34, v12 offset:216
	global_wb scope:SCOPE_SE
	s_wait_dscnt 0x0
	s_barrier_signal -1
	s_barrier_wait -1
	global_inv scope:SCOPE_SE
                                        ; implicit-def: $vgpr29
	s_and_saveexec_b32 s1, s0
	s_cbranch_execz .LBB0_9
; %bb.8:
	v_add_nc_u32_e32 v6, 0x400, v31
	ds_load_2addr_b32 v[19:20], v31 offset1:63
	ds_load_2addr_b32 v[25:26], v31 offset0:126 offset1:189
	ds_load_2addr_b32 v[27:28], v5 offset0:124 offset1:187
	v_add_nc_u32_e32 v5, 0x800, v31
	ds_load_2addr_b32 v[21:22], v4 offset0:120 offset1:183
	ds_load_2addr_b32 v[23:24], v6 offset0:122 offset1:185
	;; [unrolled: 1-line block ×3, first 2 shown]
	ds_load_b32 v74, v31 offset:3024
	s_wait_dscnt 0x6
	v_lshrrev_b32_e32 v53, 16, v19
	v_lshrrev_b32_e32 v63, 16, v20
	s_wait_dscnt 0x5
	v_lshrrev_b32_e32 v65, 16, v25
	v_lshrrev_b32_e32 v70, 16, v26
	;; [unrolled: 3-line block ×6, first 2 shown]
	s_wait_dscnt 0x0
	v_lshrrev_b32_e32 v78, 16, v74
.LBB0_9:
	s_wait_alu 0xfffe
	s_or_b32 exec_lo, exec_lo, s1
	v_subrev_nc_u32_e32 v4, 63, v32
	s_delay_alu instid0(VALU_DEP_1) | instskip(NEXT) | instid1(VALU_DEP_1)
	v_cndmask_b32_e64 v4, v4, v32, s0
	v_mul_i32_i24_e32 v5, 48, v4
	v_mul_hi_i32_i24_e32 v4, 48, v4
	s_delay_alu instid0(VALU_DEP_2) | instskip(SKIP_1) | instid1(VALU_DEP_2)
	v_add_co_u32 v12, s1, s2, v5
	s_wait_alu 0xf1ff
	v_add_co_ci_u32_e64 v13, s1, s3, v4, s1
	s_clause 0x2
	global_load_b128 v[8:11], v[12:13], off offset:216
	global_load_b128 v[4:7], v[12:13], off offset:232
	;; [unrolled: 1-line block ×3, first 2 shown]
	s_wait_loadcnt 0x2
	v_lshrrev_b32_e32 v51, 16, v8
	v_lshrrev_b32_e32 v49, 16, v9
	s_wait_loadcnt 0x1
	v_lshrrev_b32_e32 v36, 16, v6
	s_wait_loadcnt 0x0
	v_lshrrev_b32_e32 v40, 16, v12
	v_lshrrev_b32_e32 v50, 16, v14
	v_mul_f16_e32 v67, v63, v51
	v_lshrrev_b32_e32 v45, 16, v10
	v_lshrrev_b32_e32 v35, 16, v5
	;; [unrolled: 1-line block ×5, first 2 shown]
	v_mul_f16_e32 v80, v65, v49
	v_mul_f16_e32 v55, v24, v36
	;; [unrolled: 1-line block ×4, first 2 shown]
	v_fma_f16 v91, v20, v8, -v67
	v_lshrrev_b32_e32 v39, 16, v11
	v_lshrrev_b32_e32 v37, 16, v4
	v_mul_f16_e32 v79, v20, v51
	v_mul_f16_e32 v66, v25, v49
	;; [unrolled: 1-line block ×12, first 2 shown]
	v_fma_f16 v67, v25, v9, -v80
	v_fmac_f16_e32 v55, v69, v6
	v_fma_f16 v25, v22, v12, -v87
	v_fma_f16 v22, v30, v14, -v89
	v_add_f16_e32 v69, v19, v91
	v_mul_f16_e32 v64, v26, v45
	v_mul_f16_e32 v82, v71, v39
	;; [unrolled: 1-line block ×5, first 2 shown]
	v_fmac_f16_e32 v79, v63, v8
	v_fmac_f16_e32 v66, v65, v9
	v_fma_f16 v65, v26, v10, -v81
	v_fma_f16 v20, v23, v5, -v84
	v_fmac_f16_e32 v54, v73, v5
	v_fma_f16 v26, v21, v7, -v86
	v_fmac_f16_e32 v60, v68, v7
	v_fma_f16 v23, v29, v13, -v88
	v_fma_f16 v21, v74, v15, -v90
	v_fmac_f16_e32 v59, v78, v15
	v_add_f16_e32 v68, v67, v22
	v_sub_f16_e32 v73, v67, v22
	v_add_f16_e32 v67, v69, v67
	v_mul_f16_e32 v83, v72, v37
	v_mul_f16_e32 v57, v29, v48
	v_fmac_f16_e32 v64, v70, v10
	v_fma_f16 v63, v27, v11, -v82
	v_fmac_f16_e32 v62, v71, v11
	v_fmac_f16_e32 v61, v72, v4
	;; [unrolled: 1-line block ×4, first 2 shown]
	v_add_f16_e32 v70, v53, v79
	v_add_f16_e32 v29, v79, v59
	v_sub_f16_e32 v71, v91, v21
	v_sub_f16_e32 v72, v79, v59
	v_add_f16_e32 v75, v65, v23
	v_sub_f16_e32 v79, v65, v23
	v_add_f16_e32 v65, v67, v65
	v_fma_f16 v27, v28, v4, -v83
	v_fmac_f16_e32 v57, v77, v13
	v_add_f16_e32 v28, v91, v21
	v_add_f16_e32 v30, v66, v58
	v_sub_f16_e32 v74, v66, v58
	v_add_f16_e32 v78, v63, v25
	v_sub_f16_e32 v84, v63, v25
	v_add_f16_e32 v66, v70, v66
	v_mul_f16_e32 v69, 0xb770, v72
	v_mul_f16_e32 v70, 0xb770, v71
	;; [unrolled: 1-line block ×12, first 2 shown]
	v_add_f16_e32 v63, v65, v63
	v_sub_f16_e32 v77, v64, v57
	v_add_f16_e32 v76, v64, v57
	v_add_f16_e32 v82, v27, v26
	v_sub_f16_e32 v87, v27, v26
	v_mul_f16_e32 v97, 0xba95, v74
	v_mul_f16_e32 v98, 0xba95, v73
	;; [unrolled: 1-line block ×12, first 2 shown]
	v_fma_f16 v138, v28, 0x3b15, -v69
	v_fmac_f16_e32 v69, 0x3b15, v28
	v_fma_f16 v140, v28, 0x388b, -v89
	v_fmac_f16_e32 v89, 0x388b, v28
	;; [unrolled: 2-line block ×6, first 2 shown]
	v_fma_f16 v28, v29, 0xbbc4, -v71
	v_add_f16_e32 v64, v66, v64
	v_add_f16_e32 v27, v63, v27
	v_fma_f16 v24, v24, v6, -v85
	v_sub_f16_e32 v81, v62, v56
	v_add_f16_e32 v85, v62, v56
	v_fma_f16 v139, 0x3b15, v29, v70
	v_fma_f16 v70, v29, 0x3b15, -v70
	v_fma_f16 v141, 0x388b, v29, v90
	v_fma_f16 v90, v29, 0x388b, -v90
	;; [unrolled: 2-line block ×6, first 2 shown]
	v_fmac_f16_e32 v97, 0x388b, v68
	v_fma_f16 v71, v68, 0xb5ac, -v99
	v_fmac_f16_e32 v99, 0xb5ac, v68
	v_fma_f16 v150, v68, 0xbbc4, -v101
	;; [unrolled: 2-line block ×5, first 2 shown]
	v_fmac_f16_e32 v74, 0x3b15, v68
	v_fmamk_f16 v68, v30, 0x388b, v98
	v_fma_f16 v98, v30, 0x388b, -v98
	v_fma_f16 v154, 0xb5ac, v30, v100
	v_fma_f16 v100, v30, 0xb5ac, -v100
	v_fma_f16 v155, 0xbbc4, v30, v102
	;; [unrolled: 2-line block ×5, first 2 shown]
	v_fma_f16 v30, v30, 0x3b15, -v73
	v_add_f16_e32 v62, v64, v62
	v_add_f16_e32 v28, v53, v28
	;; [unrolled: 1-line block ×3, first 2 shown]
	v_mul_f16_e32 v107, 0xbbf1, v77
	v_mul_f16_e32 v108, 0xb3a8, v77
	;; [unrolled: 1-line block ×9, first 2 shown]
	v_add_f16_e32 v69, v19, v69
	v_add_f16_e64 v140, v19, v140
	v_add_f16_e32 v93, v19, v93
	v_add_f16_e64 v139, v53, v139
	;; [unrolled: 2-line block ×3, first 2 shown]
	v_add_f16_e32 v28, v30, v28
	v_add_f16_e32 v30, v62, v61
	;; [unrolled: 1-line block ×3, first 2 shown]
	v_sub_f16_e32 v86, v61, v60
	v_mul_f16_e32 v115, 0x3770, v79
	v_mul_f16_e32 v120, 0xbbf1, v81
	;; [unrolled: 1-line block ×3, first 2 shown]
	v_fma_f16 v73, v75, 0x2fb7, -v107
	v_fmac_f16_e32 v107, 0x2fb7, v75
	v_fma_f16 v159, v75, 0xbbc4, -v108
	v_fmac_f16_e32 v108, 0xbbc4, v75
	;; [unrolled: 2-line block ×6, first 2 shown]
	v_fmamk_f16 v66, v76, 0x2fb7, v112
	v_fma_f16 v67, v76, 0x2fb7, -v112
	v_fmamk_f16 v75, v76, 0xbbc4, v113
	v_fma_f16 v112, v76, 0xbbc4, -v113
	v_fmamk_f16 v113, v76, 0xb5ac, v114
	v_add_f16_e64 v138, v19, v138
	v_add_f16_e32 v89, v19, v89
	v_add_f16_e64 v142, v19, v142
	v_add_f16_e32 v91, v19, v91
	v_add_f16_e64 v144, v19, v144
	v_add_f16_e64 v146, v19, v146
	v_add_f16_e32 v95, v19, v95
	v_add_f16_e64 v148, v19, v148
	v_add_f16_e32 v19, v19, v72
	v_add_f16_e32 v94, v53, v94
	v_add_f16_e64 v68, v68, v139
	v_add_f16_e32 v69, v97, v69
	v_add_f16_e64 v71, v71, v140
	;; [unrolled: 2-line block ×3, first 2 shown]
	v_add_f16_e32 v93, v103, v93
	v_add_f16_e32 v30, v30, v54
	;; [unrolled: 1-line block ×4, first 2 shown]
	v_mul_f16_e32 v116, 0xba95, v79
	v_mul_f16_e32 v79, 0xb94e, v79
	;; [unrolled: 1-line block ×9, first 2 shown]
	v_mul_f16_e64 v132, 0xba95, v87
	v_mul_f16_e64 v133, 0x33a8, v86
	v_fma_f16 v164, 0x3b15, v76, v115
	v_fma_f16 v115, v76, 0x3b15, -v115
	v_fma_f16 v169, v78, 0x2fb7, -v120
	v_fmac_f16_e32 v120, 0x2fb7, v78
	v_fma_f16 v173, 0x3b15, v85, v124
	v_add_f16_e32 v70, v53, v70
	v_add_f16_e64 v29, v29, v138
	v_add_f16_e32 v91, v101, v91
	v_add_f16_e32 v94, v104, v94
	;; [unrolled: 1-line block ×5, first 2 shown]
	v_add_f16_e64 v66, v159, v71
	v_add_f16_e32 v69, v112, v90
	v_add_f16_e32 v71, v113, v100
	;; [unrolled: 1-line block ×5, first 2 shown]
	v_sub_f16_e32 v80, v54, v55
	v_mul_f16_e32 v123, 0x394e, v84
	v_mul_f16_e32 v126, 0x33a8, v84
	;; [unrolled: 1-line block ×4, first 2 shown]
	v_mul_f16_e64 v134, 0x33a8, v87
	v_fma_f16 v114, v76, 0xb5ac, -v114
	v_fma_f16 v165, 0x388b, v76, v116
	v_fma_f16 v116, v76, 0x388b, -v116
	v_fma_f16 v166, 0xb9fd, v76, v79
	v_fma_f16 v76, v76, 0xb9fd, -v79
	v_fma_f16 v79, v78, 0xb5ac, -v117
	v_fmac_f16_e32 v117, 0xb5ac, v78
	v_fma_f16 v167, v78, 0xb9fd, -v118
	v_fmac_f16_e32 v118, 0xb9fd, v78
	v_fma_f16 v168, v78, 0x3b15, -v119
	v_fmac_f16_e32 v119, 0x3b15, v78
	v_fma_f16 v170, v78, 0xbbc4, -v121
	v_fmac_f16_e32 v121, 0xbbc4, v78
	v_fma_f16 v171, v78, 0x388b, -v81
	v_fmac_f16_e32 v81, 0x388b, v78
	v_fmamk_f16 v78, v85, 0xb5ac, v122
	v_fma_f16 v174, 0x2fb7, v85, v125
	v_fma_f16 v125, v85, 0x2fb7, -v125
	v_fma_f16 v65, 0x388b, v83, v132
	v_fma_f16 v64, v82, 0xbbc4, -v133
	v_add_f16_e64 v141, v53, v141
	v_fmac_f16_e64 v133, 0xbbc4, v82
	v_add_f16_e32 v70, v98, v70
	v_add_f16_e32 v29, v73, v29
	;; [unrolled: 1-line block ×5, first 2 shown]
	v_add_f16_e64 v71, v173, v71
	v_add_f16_e32 v77, v120, v90
	v_add_f16_e32 v27, v30, v60
	;; [unrolled: 1-line block ×4, first 2 shown]
	v_mul_f16_e64 v128, 0xb94e, v87
	v_mul_f16_e64 v129, 0x3bf1, v86
	;; [unrolled: 1-line block ×6, first 2 shown]
	v_mul_f16_e32 v86, 0xbb7b, v86
	v_mul_f16_e32 v87, 0xbb7b, v87
	v_mul_f16_e64 v137, 0xb3a8, v80
	v_fma_f16 v122, v85, 0xb5ac, -v122
	v_fma_f16 v172, 0xb9fd, v85, v123
	v_fma_f16 v123, v85, 0xb9fd, -v123
	v_fma_f16 v124, v85, 0x3b15, -v124
	v_fma_f16 v175, 0xbbc4, v85, v126
	v_fma_f16 v126, v85, 0xbbc4, -v126
	v_fma_f16 v176, 0x388b, v85, v84
	v_fma_f16 v84, v85, 0x388b, -v84
	v_fma_f16 v85, v82, 0xb9fd, -v127
	v_add_f16_e32 v92, v53, v92
	v_add_f16_e64 v145, v53, v145
	v_add_f16_e64 v147, v53, v147
	v_add_f16_e32 v96, v53, v96
	v_add_f16_e64 v149, v53, v149
	v_fma_f16 v53, 0xbbc4, v83, v134
	v_fma_f16 v134, v83, 0xbbc4, -v134
	v_add_f16_e64 v140, v154, v141
	v_add_f16_e32 v89, v99, v89
	v_add_f16_e32 v63, v67, v70
	;; [unrolled: 1-line block ×8, first 2 shown]
	v_add_f16_e64 v71, v133, v77
	v_add_f16_e32 v22, v23, v22
	v_sub_f16_e32 v77, v20, v24
	v_fma_f16 v177, 0xb9fd, v83, v128
	v_fma_f16 v128, v83, 0xb9fd, -v128
	v_fma_f16 v97, v82, 0xb5ac, -v86
	v_add_f16_e64 v99, v150, v142
	v_add_f16_e64 v67, v75, v140
	v_add_f16_e32 v68, v108, v89
	v_add_f16_e32 v63, v122, v63
	;; [unrolled: 1-line block ×6, first 2 shown]
	v_add_f16_e64 v26, v134, v78
	v_add_f16_e32 v23, v22, v21
	v_fmac_f16_e32 v86, 0xb5ac, v82
	v_fma_f16 v20, v83, 0xb5ac, -v87
	v_add_f16_e32 v78, v54, v55
	v_fma_f16 v21, v88, 0xbbc4, -v137
	v_mul_f16_e32 v22, 0xb3a8, v77
	v_fmac_f16_e32 v127, 0xb9fd, v82
	v_fma_f16 v178, v82, 0x2fb7, -v129
	v_fma_f16 v72, 0x2fb7, v83, v130
	v_fmac_f16_e64 v129, 0x2fb7, v82
	v_fma_f16 v179, v82, 0x388b, -v131
	v_fmac_f16_e64 v131, 0x388b, v82
	v_fma_f16 v138, v82, 0x3b15, -v135
	v_fmac_f16_e64 v135, 0x3b15, v82
	v_add_f16_e32 v92, v102, v92
	v_add_f16_e64 v101, v151, v144
	v_add_f16_e64 v70, v160, v99
	v_add_f16_e32 v62, v117, v62
	v_add_f16_e64 v66, v167, v66
	v_add_f16_e64 v67, v172, v67
	;; [unrolled: 3-line block ×3, first 2 shown]
	v_add_f16_e32 v25, v25, v58
	v_add_f16_e32 v81, v86, v19
	;; [unrolled: 1-line block ×4, first 2 shown]
	v_fmamk_f16 v19, v78, 0xbbc4, v22
	v_mul_f16_e32 v20, 0x3770, v80
	v_fma_f16 v21, v78, 0xbbc4, -v22
	v_mul_f16_e32 v22, 0x3770, v77
	v_fma_f16 v130, v83, 0x2fb7, -v130
	v_add_f16_e64 v102, v156, v145
	v_add_f16_e32 v74, v114, v92
	v_add_f16_e64 v75, v161, v101
	v_add_f16_e32 v69, v123, v69
	;; [unrolled: 2-line block ×5, first 2 shown]
	v_fma_f16 v25, v88, 0x3b15, -v20
	v_add_f16_e32 v57, v21, v61
	v_fmamk_f16 v21, v78, 0x3b15, v22
	v_mul_f16_e32 v29, 0xb94e, v80
	v_fmac_f16_e32 v20, 0x3b15, v88
	v_fma_f16 v132, v83, 0x388b, -v132
	v_add_f16_e64 v103, v152, v146
	v_add_f16_e64 v89, v164, v102
	v_add_f16_e32 v73, v119, v73
	v_add_f16_e32 v74, v124, v74
	v_add_f16_e64 v75, v169, v75
	v_add_f16_e64 v67, v130, v69
	;; [unrolled: 1-line block ×3, first 2 shown]
	v_add_f16_e32 v19, v19, v30
	v_add_f16_e32 v27, v25, v62
	v_fma_f16 v25, v78, 0x3b15, -v22
	v_add_f16_e32 v59, v21, v63
	v_fma_f16 v21, v88, 0xb9fd, -v29
	v_mul_f16_e32 v30, 0xb94e, v77
	v_add_f16_e32 v22, v20, v66
	v_mul_f16_e32 v20, 0x3a95, v80
	v_add_f16_e32 v95, v105, v95
	v_add_f16_e64 v92, v162, v103
	v_add_f16_e64 v76, v174, v89
	;; [unrolled: 1-line block ×4, first 2 shown]
	v_add_f16_e32 v64, v64, v75
	v_fmac_f16_e64 v137, 0xbbc4, v88
	v_add_f16_e32 v54, v25, v67
	v_add_f16_e32 v28, v21, v68
	v_fmamk_f16 v21, v78, 0xb9fd, v30
	v_fmac_f16_e32 v29, 0xb9fd, v88
	v_fma_f16 v25, v78, 0xb9fd, -v30
	v_fma_f16 v30, v88, 0x388b, -v20
	v_mul_f16_e32 v61, 0x3a95, v77
	v_add_f16_e64 v104, v157, v147
	v_add_f16_e32 v96, v106, v96
	v_add_f16_e64 v105, v153, v148
	v_add_f16_e64 v106, v158, v149
	v_add_f16_e32 v94, v111, v95
	v_add_f16_e64 v79, v170, v92
	v_add_f16_e32 v53, v53, v76
	;; [unrolled: 2-line block ×3, first 2 shown]
	v_add_f16_e32 v21, v29, v69
	v_add_f16_e32 v56, v25, v70
	;; [unrolled: 1-line block ×3, first 2 shown]
	v_fmamk_f16 v29, v78, 0x388b, v61
	v_mul_f16_e32 v30, 0xbb7b, v80
	v_add_f16_e64 v93, v165, v104
	v_add_f16_e32 v95, v116, v96
	v_add_f16_e64 v96, v163, v105
	v_add_f16_e64 v99, v166, v106
	v_add_f16_e32 v90, v121, v94
	v_add_f16_e64 v72, v138, v79
	v_fma_f16 v62, v78, 0x388b, -v61
	v_add_f16_e32 v61, v29, v53
	v_fma_f16 v29, v88, 0xb5ac, -v30
	v_fma_f16 v139, 0x3b15, v83, v136
	v_fma_f16 v136, v83, 0x3b15, -v136
	v_fmamk_f16 v98, v83, 0xb5ac, v87
	v_add_f16_e64 v89, v175, v93
	v_add_f16_e32 v91, v126, v95
	v_add_f16_e64 v92, v171, v96
	v_add_f16_e64 v93, v176, v99
	;; [unrolled: 1-line block ×3, first 2 shown]
	v_mul_f16_e32 v63, 0xbb7b, v77
	v_add_f16_e32 v53, v62, v26
	v_fmac_f16_e32 v30, 0xb5ac, v88
	v_add_f16_e32 v26, v29, v72
	v_mul_f16_e32 v65, 0x3bf1, v80
	v_mul_f16_e32 v29, 0x3bf1, v77
	v_add_f16_e64 v73, v139, v89
	v_add_f16_e64 v75, v136, v91
	v_add_f16_e32 v76, v97, v92
	v_add_f16_e32 v79, v98, v93
	v_fmac_f16_e32 v20, 0x388b, v88
	v_fmamk_f16 v62, v78, 0xb5ac, v63
	v_add_f16_e32 v64, v30, v74
	v_fma_f16 v30, v78, 0xb5ac, -v63
	v_fma_f16 v63, v88, 0x2fb7, -v65
	v_fmamk_f16 v67, v78, 0x2fb7, v29
	v_fmac_f16_e32 v65, 0x2fb7, v88
	v_fma_f16 v68, v78, 0x2fb7, -v29
	v_add_f16_e32 v20, v20, v71
	v_add_f16_e32 v62, v62, v73
	;; [unrolled: 1-line block ×7, first 2 shown]
	s_and_saveexec_b32 s1, s0
	s_cbranch_execz .LBB0_11
; %bb.10:
	v_perm_b32 v67, v58, v23, 0x5040100
	v_perm_b32 v68, v19, v24, 0x5040100
	;; [unrolled: 1-line block ×5, first 2 shown]
	ds_store_2addr_b32 v31, v67, v68 offset1:63
	ds_store_2addr_b32 v31, v69, v70 offset0:126 offset1:189
	v_perm_b32 v67, v61, v25, 0x5040100
	v_perm_b32 v68, v62, v26, 0x5040100
	v_add_nc_u32_e32 v69, 0x200, v31
	v_perm_b32 v70, v63, v29, 0x5040100
	v_add_nc_u32_e32 v72, 0x400, v31
	v_perm_b32 v73, v66, v64, 0x5040100
	v_perm_b32 v74, v53, v20, 0x5040100
	v_add_nc_u32_e32 v75, 0x600, v31
	v_perm_b32 v76, v56, v21, 0x5040100
	;; [unrolled: 3-line block ×3, first 2 shown]
	ds_store_2addr_b32 v69, v67, v68 offset0:124 offset1:187
	ds_store_2addr_b32 v72, v70, v71 offset0:122 offset1:185
	;; [unrolled: 1-line block ×4, first 2 shown]
	ds_store_b32 v31, v79 offset:3024
.LBB0_11:
	s_wait_alu 0xfffe
	s_or_b32 exec_lo, exec_lo, s1
	global_wb scope:SCOPE_SE
	s_wait_dscnt 0x0
	s_barrier_signal -1
	s_barrier_wait -1
	global_inv scope:SCOPE_SE
	s_and_saveexec_b32 s1, vcc_lo
	s_cbranch_execz .LBB0_13
; %bb.12:
	global_load_b32 v67, v31, s[14:15] offset:3276
	s_add_nc_u64 s[2:3], s[14:15], 0xccc
	s_clause 0x7
	global_load_b32 v75, v31, s[2:3] offset:364
	global_load_b32 v76, v31, s[2:3] offset:728
	;; [unrolled: 1-line block ×8, first 2 shown]
	ds_load_b32 v68, v31
	v_add_nc_u32_e32 v83, 0x400, v31
	v_add_nc_u32_e32 v84, 0x600, v31
	;; [unrolled: 1-line block ×3, first 2 shown]
	s_wait_dscnt 0x0
	v_lshrrev_b32_e32 v69, 16, v68
	s_wait_loadcnt 0x7
	v_lshrrev_b32_e32 v86, 16, v75
	s_wait_loadcnt 0x6
	;; [unrolled: 2-line block ×4, first 2 shown]
	v_lshrrev_b32_e32 v89, 16, v78
	v_lshrrev_b32_e32 v70, 16, v67
	s_wait_loadcnt 0x3
	v_lshrrev_b32_e32 v90, 16, v79
	s_wait_loadcnt 0x2
	;; [unrolled: 2-line block ×4, first 2 shown]
	v_lshrrev_b32_e32 v93, 16, v82
	v_mul_f16_e32 v71, v69, v70
	v_mul_f16_e32 v70, v68, v70
	s_delay_alu instid0(VALU_DEP_2) | instskip(NEXT) | instid1(VALU_DEP_2)
	v_fma_f16 v68, v68, v67, -v71
	v_fmac_f16_e32 v70, v69, v67
	s_delay_alu instid0(VALU_DEP_1)
	v_pack_b32_f16 v67, v68, v70
	ds_store_b32 v31, v67
	ds_load_2addr_b32 v[67:68], v31 offset0:91 offset1:182
	ds_load_2addr_b32 v[69:70], v83 offset0:17 offset1:108
	;; [unrolled: 1-line block ×4, first 2 shown]
	s_wait_dscnt 0x3
	v_lshrrev_b32_e32 v94, 16, v67
	v_lshrrev_b32_e32 v96, 16, v68
	s_wait_dscnt 0x2
	v_lshrrev_b32_e32 v98, 16, v69
	v_lshrrev_b32_e32 v100, 16, v70
	s_wait_dscnt 0x1
	v_lshrrev_b32_e32 v102, 16, v71
	v_lshrrev_b32_e32 v104, 16, v72
	s_wait_dscnt 0x0
	v_lshrrev_b32_e32 v106, 16, v73
	v_lshrrev_b32_e32 v108, 16, v74
	v_mul_f16_e32 v95, v67, v86
	v_mul_f16_e32 v97, v68, v87
	;; [unrolled: 1-line block ×16, first 2 shown]
	v_fmac_f16_e32 v95, v94, v75
	v_fmac_f16_e32 v97, v96, v76
	v_fma_f16 v67, v67, v75, -v86
	v_fma_f16 v68, v68, v76, -v87
	v_fmac_f16_e32 v99, v98, v77
	v_fmac_f16_e32 v101, v100, v78
	v_fma_f16 v69, v69, v77, -v88
	v_fma_f16 v70, v70, v78, -v89
	;; [unrolled: 4-line block ×4, first 2 shown]
	v_pack_b32_f16 v67, v67, v95
	v_pack_b32_f16 v68, v68, v97
	;; [unrolled: 1-line block ×8, first 2 shown]
	ds_store_2addr_b32 v31, v67, v68 offset0:91 offset1:182
	ds_store_2addr_b32 v83, v69, v70 offset0:17 offset1:108
	;; [unrolled: 1-line block ×4, first 2 shown]
.LBB0_13:
	s_wait_alu 0xfffe
	s_or_b32 exec_lo, exec_lo, s1
	global_wb scope:SCOPE_SE
	s_wait_dscnt 0x0
	s_barrier_signal -1
	s_barrier_wait -1
	global_inv scope:SCOPE_SE
	s_and_saveexec_b32 s1, vcc_lo
	s_cbranch_execz .LBB0_15
; %bb.14:
	v_add_nc_u32_e32 v19, 0x200, v31
	v_add_nc_u32_e32 v25, 0x400, v31
	v_add_nc_u32_e32 v29, 0x800, v31
	ds_load_2addr_b32 v[23:24], v31 offset1:91
	ds_load_2addr_b32 v[27:28], v19 offset0:54 offset1:145
	ds_load_2addr_b32 v[25:26], v25 offset0:108 offset1:199
	;; [unrolled: 1-line block ×3, first 2 shown]
	ds_load_b32 v64, v31 offset:2912
	s_wait_dscnt 0x3
	v_lshrrev_b32_e32 v59, 16, v27
	v_lshrrev_b32_e32 v58, 16, v23
	;; [unrolled: 1-line block ×4, first 2 shown]
	s_wait_dscnt 0x2
	v_lshrrev_b32_e32 v61, 16, v25
	v_lshrrev_b32_e32 v62, 16, v26
	s_wait_dscnt 0x1
	v_lshrrev_b32_e32 v63, 16, v29
	v_lshrrev_b32_e32 v65, 16, v30
	s_wait_dscnt 0x0
	v_lshrrev_b32_e32 v66, 16, v64
.LBB0_15:
	s_wait_alu 0xfffe
	s_or_b32 exec_lo, exec_lo, s1
	v_sub_f16_e32 v68, v24, v64
	s_delay_alu instid0(VALU_DEP_2)
	v_sub_f16_e32 v69, v19, v66
	v_add_f16_e32 v70, v64, v24
	v_sub_f16_e32 v64, v27, v30
	v_sub_f16_e32 v67, v59, v65
	v_add_f16_e32 v66, v66, v19
	v_sub_f16_e32 v77, v28, v29
	v_sub_f16_e32 v78, v60, v63
	v_add_f16_e32 v30, v30, v27
	v_add_f16_e32 v71, v65, v59
	;; [unrolled: 1-line block ×3, first 2 shown]
	v_sub_f16_e32 v27, v25, v26
	v_sub_f16_e32 v65, v61, v62
	v_add_f16_e32 v29, v63, v60
	v_add_f16_e32 v72, v26, v25
	;; [unrolled: 1-line block ×3, first 2 shown]
	v_mul_f16_e32 v24, 0x3924, v68
	v_mul_f16_e32 v79, 0x3924, v69
	v_fmamk_f16 v19, v70, 0x3a21, v23
	v_fmamk_f16 v59, v66, 0x3a21, v58
	v_mul_f16_e32 v60, 0x3924, v27
	v_mul_f16_e32 v73, 0x3924, v65
	v_fmamk_f16 v74, v72, 0x3a21, v23
	v_fmamk_f16 v80, v63, 0x3a21, v58
	v_fmac_f16_e32 v24, 0x3be1, v64
	v_fmac_f16_e32 v79, 0x3be1, v67
	;; [unrolled: 1-line block ×4, first 2 shown]
	v_fma_f16 v81, v68, 0x3be1, -v60
	v_fma_f16 v82, v69, 0x3be1, -v73
	v_fmac_f16_e32 v74, 0x318f, v70
	v_fmac_f16_e32 v80, 0x318f, v66
	;; [unrolled: 1-line block ×4, first 2 shown]
	v_fmac_f16_e32 v19, -0.5, v28
	v_fmac_f16_e32 v59, -0.5, v29
	v_fmac_f16_e32 v81, 0xbaee, v77
	v_fmac_f16_e32 v82, 0xbaee, v78
	v_fmac_f16_e32 v74, -0.5, v28
	v_fmac_f16_e32 v80, -0.5, v29
	v_fmac_f16_e32 v24, 0x3579, v27
	v_fmac_f16_e32 v79, 0x3579, v65
	;; [unrolled: 1-line block ×8, first 2 shown]
	v_sub_f16_e32 v75, v19, v79
	v_add_f16_e32 v76, v24, v59
	global_wb scope:SCOPE_SE
	v_sub_f16_e32 v73, v74, v82
	v_add_f16_e32 v74, v81, v80
	v_fma_f16 v19, 2.0, v79, v75
	v_fma_f16 v60, -2.0, v24, v76
	s_barrier_signal -1
	v_fma_f16 v24, 2.0, v82, v73
	v_fma_f16 v59, -2.0, v81, v74
	s_barrier_wait -1
	global_inv scope:SCOPE_SE
	s_and_saveexec_b32 s1, vcc_lo
	s_cbranch_execz .LBB0_17
; %bb.16:
	v_mul_f16_e32 v80, 0x3be1, v65
	v_fmamk_f16 v83, v71, 0x3a21, v58
	v_mul_f16_e32 v78, 0x3aee, v78
	v_mul_f16_e32 v84, 0.5, v29
	v_add_f16_e32 v71, v71, v66
	v_fma_f16 v80, v67, 0xb924, -v80
	v_fmac_f16_e32 v83, 0x318f, v63
	v_fmamk_f16 v81, v30, 0x3a21, v23
	v_mul_f16_e32 v82, 0x3be1, v27
	v_add_f16_e32 v30, v30, v70
	v_add_f16_e32 v78, v78, v80
	v_sub_f16_e32 v80, v83, v84
	v_mul_f16_e32 v77, 0x3aee, v77
	v_mul_f16_e32 v79, 0.5, v28
	v_fmac_f16_e32 v81, 0x318f, v72
	v_fma_f16 v82, v64, 0xb924, -v82
	v_fmac_f16_e32 v80, 0xbb84, v66
	v_add_f16_e32 v66, v29, v71
	v_add_f16_e32 v65, v65, v69
	v_sub_f16_e32 v79, v81, v79
	v_add_f16_e32 v77, v77, v82
	v_add_f16_e32 v27, v27, v68
	;; [unrolled: 1-line block ×5, first 2 shown]
	v_fmac_f16_e32 v78, 0x3579, v69
	v_fmac_f16_e32 v79, 0xbb84, v70
	v_add_f16_e32 v61, v62, v61
	v_add_f16_e32 v62, v28, v30
	;; [unrolled: 1-line block ×4, first 2 shown]
	v_fmac_f16_e32 v77, 0x3579, v68
	v_sub_f16_e32 v27, v27, v64
	v_add_f16_e32 v25, v25, v62
	v_sub_f16_e32 v62, v65, v67
	v_fmac_f16_e32 v28, -0.5, v30
	v_fmac_f16_e32 v29, -0.5, v63
	v_sub_f16_e32 v79, v79, v78
	v_add_f16_e32 v25, v26, v25
	v_add_f16_e32 v80, v77, v80
	v_mul_f16_e32 v26, 0x3aee, v62
	v_fmac_f16_e32 v28, 0xbaee, v62
	v_mul_f16_e32 v30, 0x3aee, v27
	v_fmac_f16_e32 v29, 0x3aee, v27
	v_and_b32_e32 v27, 0xffff, v33
	v_add_f16_e32 v33, v58, v61
	v_add_f16_e32 v23, v23, v25
	v_fma_f16 v66, 2.0, v78, v79
	v_fma_f16 v70, -2.0, v77, v80
	v_fma_f16 v25, 2.0, v26, v28
	v_fma_f16 v26, -2.0, v30, v29
	v_lshlrev_b32_e32 v27, 2, v27
	v_perm_b32 v30, v76, v75, 0x5040100
	v_pack_b32_f16 v23, v23, v33
	v_pack_b32_f16 v28, v28, v29
	v_perm_b32 v29, v74, v73, 0x5040100
	v_pack_b32_f16 v33, v79, v80
	v_pack_b32_f16 v58, v66, v70
	;; [unrolled: 1-line block ×3, first 2 shown]
	v_perm_b32 v26, v59, v24, 0x5040100
	v_perm_b32 v61, v60, v19, 0x5040100
	ds_store_2addr_b32 v27, v23, v30 offset1:1
	ds_store_2addr_b32 v27, v29, v28 offset0:2 offset1:3
	ds_store_2addr_b32 v27, v33, v58 offset0:4 offset1:5
	;; [unrolled: 1-line block ×3, first 2 shown]
	ds_store_b32 v27, v61 offset:32
.LBB0_17:
	s_wait_alu 0xfffe
	s_or_b32 exec_lo, exec_lo, s1
	global_wb scope:SCOPE_SE
	s_wait_dscnt 0x0
	s_barrier_signal -1
	s_barrier_wait -1
	global_inv scope:SCOPE_SE
	ds_load_2addr_b32 v[28:29], v31 offset1:117
	v_add_nc_u32_e32 v27, 0x200, v31
	v_add_nc_u32_e32 v26, 0x600, v31
	ds_load_b32 v23, v31 offset:2808
	ds_load_2addr_b32 v[61:62], v27 offset0:106 offset1:223
	ds_load_2addr_b32 v[63:64], v26 offset0:84 offset1:201
	global_wb scope:SCOPE_SE
	s_wait_dscnt 0x0
	s_barrier_signal -1
	s_barrier_wait -1
	global_inv scope:SCOPE_SE
	v_lshrrev_b32_e32 v30, 16, v29
	v_mul_f16_e32 v58, v47, v29
	v_lshrrev_b32_e32 v25, 16, v28
	v_lshrrev_b32_e32 v33, 16, v23
	;; [unrolled: 1-line block ×6, first 2 shown]
	v_mul_f16_e32 v47, v47, v30
	v_mul_f16_e32 v65, v46, v23
	v_fma_f16 v30, v0, v30, -v58
	v_mul_f16_e32 v58, v44, v61
	v_mul_f16_e32 v70, v42, v62
	;; [unrolled: 1-line block ×5, first 2 shown]
	v_fmac_f16_e32 v47, v0, v29
	v_mul_f16_e32 v0, v44, v66
	v_mul_f16_e32 v42, v42, v67
	v_mul_f16_e32 v43, v43, v68
	v_mul_f16_e32 v41, v41, v69
	v_fma_f16 v29, v1, v66, -v58
	v_fma_f16 v44, v2, v67, -v70
	v_fmac_f16_e32 v0, v1, v61
	v_fmac_f16_e32 v42, v2, v62
	;; [unrolled: 1-line block ×4, first 2 shown]
	v_fma_f16 v1, v18, v33, -v65
	v_fma_f16 v2, v3, v68, -v71
	v_fmac_f16_e32 v41, v17, v64
	v_fma_f16 v3, v17, v69, -v72
	v_add_f16_e32 v17, v47, v46
	v_add_f16_e32 v18, v30, v1
	v_sub_f16_e32 v1, v30, v1
	v_add_f16_e32 v30, v0, v41
	v_add_f16_e32 v33, v29, v3
	v_sub_f16_e32 v0, v0, v41
	v_sub_f16_e32 v3, v29, v3
	v_add_f16_e32 v29, v42, v43
	v_add_f16_e32 v41, v44, v2
	v_sub_f16_e32 v42, v43, v42
	;; [unrolled: 4-line block ×3, first 2 shown]
	v_sub_f16_e32 v46, v30, v17
	v_sub_f16_e32 v47, v33, v18
	;; [unrolled: 1-line block ×6, first 2 shown]
	v_add_f16_e32 v58, v42, v0
	v_sub_f16_e32 v62, v42, v0
	v_sub_f16_e32 v63, v2, v3
	v_add_f16_e32 v29, v29, v43
	v_add_f16_e32 v41, v41, v44
	;; [unrolled: 1-line block ×3, first 2 shown]
	v_sub_f16_e32 v64, v0, v23
	v_sub_f16_e32 v3, v3, v1
	;; [unrolled: 1-line block ×4, first 2 shown]
	v_add_f16_e32 v23, v58, v23
	v_add_f16_e32 v0, v28, v29
	;; [unrolled: 1-line block ×3, first 2 shown]
	v_mul_f16_e32 v17, 0x3a52, v17
	v_mul_f16_e32 v18, 0x3a52, v18
	;; [unrolled: 1-line block ×4, first 2 shown]
	v_add_f16_e32 v1, v61, v1
	v_mul_f16_e32 v28, 0x2b26, v30
	v_mul_f16_e32 v43, 0x2b26, v33
	;; [unrolled: 1-line block ×4, first 2 shown]
	v_fmamk_f16 v29, v29, 0xbcab, v0
	v_fmamk_f16 v41, v41, 0xbcab, v25
	;; [unrolled: 1-line block ×6, first 2 shown]
	v_fma_f16 v28, v46, 0x39e0, -v28
	v_fma_f16 v43, v47, 0x39e0, -v43
	;; [unrolled: 1-line block ×8, first 2 shown]
	v_add_f16_e32 v30, v30, v29
	v_add_f16_e32 v33, v33, v41
	v_fmac_f16_e32 v63, 0xb70e, v23
	v_fmac_f16_e32 v65, 0xb70e, v1
	v_add_f16_e32 v2, v28, v29
	v_add_f16_e32 v28, v43, v41
	;; [unrolled: 1-line block ×4, first 2 shown]
	v_fmac_f16_e32 v44, 0xb70e, v23
	v_fmac_f16_e32 v58, 0xb70e, v1
	;; [unrolled: 1-line block ×4, first 2 shown]
	v_add_f16_e32 v1, v65, v30
	v_sub_f16_e32 v29, v33, v63
	v_add_f16_e32 v17, v58, v43
	v_sub_f16_e32 v41, v61, v46
	v_sub_f16_e32 v18, v2, v3
	v_add_f16_e32 v42, v44, v28
	v_add_f16_e32 v2, v3, v2
	v_sub_f16_e32 v47, v28, v44
	v_sub_f16_e32 v3, v43, v58
	v_add_f16_e32 v46, v46, v61
	v_sub_f16_e32 v23, v30, v65
	v_add_f16_e32 v44, v63, v33
	v_pack_b32_f16 v28, v0, v25
	v_pack_b32_f16 v30, v1, v29
	v_pack_b32_f16 v33, v17, v41
	v_pack_b32_f16 v43, v18, v42
	v_pack_b32_f16 v58, v2, v47
	v_pack_b32_f16 v61, v3, v46
	v_pack_b32_f16 v62, v23, v44
	ds_store_2addr_b32 v34, v28, v30 offset1:9
	ds_store_2addr_b32 v34, v33, v43 offset0:18 offset1:27
	ds_store_2addr_b32 v34, v58, v61 offset0:36 offset1:45
	ds_store_b32 v34, v62 offset:216
	global_wb scope:SCOPE_SE
	s_wait_dscnt 0x0
	s_barrier_signal -1
	s_barrier_wait -1
	global_inv scope:SCOPE_SE
	s_and_saveexec_b32 s1, s0
	s_cbranch_execz .LBB0_19
; %bb.18:
	v_add_nc_u32_e32 v21, 0x400, v31
	v_add_nc_u32_e32 v22, 0x800, v31
	ds_load_2addr_b32 v[0:1], v31 offset1:63
	ds_load_2addr_b32 v[17:18], v31 offset0:126 offset1:189
	ds_load_2addr_b32 v[2:3], v27 offset0:124 offset1:187
	ds_load_2addr_b32 v[19:20], v26 offset0:120 offset1:183
	ds_load_2addr_b32 v[23:24], v21 offset0:122 offset1:185
	ds_load_2addr_b32 v[21:22], v22 offset0:118 offset1:181
	ds_load_b32 v55, v31 offset:3024
	s_wait_dscnt 0x6
	v_lshrrev_b32_e32 v25, 16, v0
	v_lshrrev_b32_e32 v29, 16, v1
	s_wait_dscnt 0x5
	v_lshrrev_b32_e32 v41, 16, v17
	v_lshrrev_b32_e32 v42, 16, v18
	;; [unrolled: 3-line block ×6, first 2 shown]
	s_wait_dscnt 0x0
	v_lshrrev_b32_e32 v57, 16, v55
.LBB0_19:
	s_wait_alu 0xfffe
	s_or_b32 exec_lo, exec_lo, s1
	s_and_saveexec_b32 s1, s0
	s_cbranch_execz .LBB0_21
; %bb.20:
	v_mul_f16_e32 v28, v51, v29
	v_mul_f16_e32 v26, v52, v57
	v_mul_f16_e32 v33, v52, v55
	v_mul_f16_e32 v34, v51, v1
	v_mul_f16_e32 v30, v49, v41
	v_fmac_f16_e32 v28, v8, v1
	v_fmac_f16_e32 v26, v15, v55
	v_mul_f16_e32 v27, v50, v54
	v_fma_f16 v15, v15, v57, -v33
	v_fma_f16 v29, v8, v29, -v34
	v_mul_f16_e32 v34, v50, v22
	v_sub_f16_e32 v8, v28, v26
	v_fmac_f16_e32 v30, v9, v17
	v_fmac_f16_e32 v27, v14, v22
	v_add_f16_e32 v50, v15, v29
	v_mul_f16_e32 v17, v49, v17
	v_mul_f16_e32 v51, 0xb94e, v8
	;; [unrolled: 1-line block ×4, first 2 shown]
	v_sub_f16_e32 v1, v30, v27
	v_fma_f16 v41, v9, v41, -v17
	v_fmamk_f16 v43, v50, 0xb9fd, v51
	v_fmac_f16_e32 v22, v13, v21
	v_mul_f16_e32 v17, v48, v21
	v_mul_f16_e32 v21, v45, v18
	v_fma_f16 v14, v14, v54, -v34
	v_fmac_f16_e32 v33, v10, v18
	v_mul_f16_e32 v45, 0x3bf1, v1
	v_fma_f16 v18, v13, v56, -v17
	v_fma_f16 v42, v10, v42, -v21
	v_add_f16_e32 v10, v25, v43
	v_mul_f16_e32 v43, v39, v47
	v_mul_f16_e32 v21, v40, v53
	v_add_f16_e32 v48, v14, v41
	v_sub_f16_e32 v9, v33, v22
	v_mul_f16_e32 v17, v40, v20
	v_fmac_f16_e32 v43, v11, v2
	v_fmac_f16_e32 v21, v12, v20
	v_mul_f16_e32 v39, v39, v2
	v_mul_f16_e32 v40, v37, v46
	;; [unrolled: 1-line block ×3, first 2 shown]
	v_fmamk_f16 v13, v48, 0x2fb7, v45
	v_mul_f16_e32 v49, 0xba95, v9
	v_add_f16_e32 v52, v18, v42
	v_sub_f16_e32 v2, v43, v21
	v_fma_f16 v20, v12, v53, -v17
	v_fma_f16 v39, v11, v47, -v39
	v_fmac_f16_e32 v40, v4, v3
	v_fmac_f16_e32 v34, v7, v19
	v_mul_f16_e32 v11, v38, v19
	v_mul_f16_e32 v12, v37, v3
	v_add_f16_e32 v10, v13, v10
	v_fmamk_f16 v13, v52, 0x388b, v49
	v_mul_f16_e32 v38, 0x33a8, v2
	v_add_f16_e32 v47, v20, v39
	v_sub_f16_e32 v3, v40, v34
	v_fma_f16 v37, v7, v60, -v11
	v_fma_f16 v46, v4, v46, -v12
	v_add_f16_e32 v4, v13, v10
	v_fmamk_f16 v7, v47, 0xbbc4, v38
	v_mul_f16_e32 v53, 0x3770, v3
	v_mul_f16_e32 v55, v35, v44
	v_add_f16_e32 v54, v37, v46
	v_mul_f16_e32 v56, v36, v59
	v_add_f16_e32 v4, v7, v4
	v_sub_f16_e32 v57, v29, v15
	v_fmac_f16_e32 v55, v5, v23
	v_fmamk_f16 v7, v54, 0x3b15, v53
	v_fmac_f16_e32 v56, v6, v24
	v_sub_f16_e32 v60, v41, v14
	v_mul_f16_e32 v58, 0xb94e, v57
	v_mul_f16_e32 v11, v36, v24
	v_add_f16_e32 v12, v7, v4
	v_add_f16_e32 v7, v26, v28
	v_mul_f16_e32 v13, v35, v23
	v_sub_f16_e32 v4, v55, v56
	v_add_f16_e32 v10, v27, v30
	v_mul_f16_e32 v24, 0x3bf1, v60
	v_fma_f16 v17, v7, 0xb9fd, -v58
	v_fma_f16 v35, v6, v59, -v11
	v_sub_f16_e32 v36, v42, v18
	v_fma_f16 v44, v5, v44, -v13
	v_fma_f16 v11, v10, 0x2fb7, -v24
	v_add_f16_e32 v5, v0, v17
	v_add_f16_e32 v6, v22, v33
	v_mul_f16_e32 v59, 0xba95, v36
	v_mul_f16_e32 v61, 0xbb7b, v4
	v_sub_f16_e32 v62, v39, v20
	v_add_f16_e32 v63, v35, v44
	v_add_f16_e32 v5, v11, v5
	v_fma_f16 v13, v6, 0x388b, -v59
	v_add_f16_e32 v11, v21, v43
	v_mul_f16_e32 v64, 0x33a8, v62
	v_fmamk_f16 v17, v63, 0xb5ac, v61
	v_sub_f16_e32 v65, v46, v37
	v_add_f16_e32 v13, v13, v5
	v_mul_f16_e32 v23, 0xb3a8, v8
	v_fma_f16 v19, v11, 0xbbc4, -v64
	v_add_f16_e32 v5, v17, v12
	v_add_f16_e32 v12, v34, v40
	v_mul_f16_e32 v66, 0x3770, v65
	v_sub_f16_e32 v67, v44, v35
	v_add_f16_e32 v17, v19, v13
	v_fmamk_f16 v19, v50, 0xbbc4, v23
	v_mul_f16_e32 v68, 0x3770, v1
	v_fma_f16 v69, v12, 0x3b15, -v66
	v_add_f16_e32 v13, v56, v55
	v_mul_f16_e32 v70, 0xbb7b, v67
	v_add_f16_e32 v19, v25, v19
	v_fmamk_f16 v71, v48, 0x3b15, v68
	v_mul_f16_e32 v72, 0xb94e, v9
	v_add_f16_e32 v17, v69, v17
	v_fma_f16 v69, v13, 0xb5ac, -v70
	v_mul_f16_e32 v73, 0xb3a8, v57
	v_add_f16_e32 v19, v71, v19
	v_fmamk_f16 v71, v52, 0xb9fd, v72
	v_mul_f16_e32 v74, 0x3a95, v2
	v_add_f16_e32 v17, v69, v17
	v_fma_f16 v69, v7, 0xbbc4, -v73
	;; [unrolled: 6-line block ×4, first 2 shown]
	v_mul_f16_e32 v80, 0x3a95, v62
	v_add_f16_e32 v19, v71, v19
	v_fmamk_f16 v71, v63, 0x2fb7, v79
	v_fma_f16 v23, v50, 0xbbc4, -v23
	v_add_f16_e32 v69, v77, v69
	v_fma_f16 v77, v11, 0x388b, -v80
	v_mul_f16_e32 v81, 0xbb7b, v65
	v_add_f16_e32 v19, v71, v19
	v_add_f16_e32 v23, v25, v23
	v_fma_f16 v68, v48, 0x3b15, -v68
	v_add_f16_e32 v69, v77, v69
	v_fma_f16 v71, v12, 0xb5ac, -v81
	v_mul_f16_e32 v77, 0x3bf1, v67
	v_fmac_f16_e32 v73, 0xbbc4, v7
	v_add_f16_e32 v23, v68, v23
	v_fma_f16 v68, v52, 0xb9fd, -v72
	v_add_f16_e32 v69, v71, v69
	v_fma_f16 v71, v13, 0x2fb7, -v77
	v_add_f16_e32 v72, v0, v73
	v_fmac_f16_e32 v75, 0x3b15, v10
	v_add_f16_e32 v68, v68, v23
	v_fma_f16 v51, v50, 0xb9fd, -v51
	v_add_f16_e32 v23, v71, v69
	v_fmac_f16_e32 v78, 0xb9fd, v6
	;; [unrolled: 4-line block ×3, first 2 shown]
	v_fma_f16 v49, v52, 0x388b, -v49
	v_add_f16_e32 v69, v78, v69
	v_fmac_f16_e32 v81, 0xb5ac, v12
	v_add_f16_e32 v45, v45, v51
	v_fmac_f16_e32 v58, 0xb9fd, v7
	v_fma_f16 v38, v47, 0xbbc4, -v38
	v_add_f16_e32 v51, v80, v69
	v_fmac_f16_e32 v24, 0x2fb7, v10
	v_add_f16_e32 v45, v49, v45
	v_fma_f16 v73, v47, 0x388b, -v74
	v_fma_f16 v53, v54, 0x3b15, -v53
	v_add_f16_e32 v49, v81, v51
	v_add_f16_e32 v51, v0, v58
	;; [unrolled: 1-line block ×3, first 2 shown]
	v_fmac_f16_e32 v59, 0x388b, v6
	v_add_f16_e32 v68, v73, v68
	v_fma_f16 v71, v54, 0xb5ac, -v76
	v_add_f16_e32 v24, v24, v51
	v_add_f16_e32 v38, v53, v38
	v_fmac_f16_e32 v64, 0xbbc4, v11
	v_fma_f16 v61, v63, 0xb5ac, -v61
	v_add_f16_e32 v68, v71, v68
	v_add_f16_e32 v24, v59, v24
	v_fma_f16 v71, v63, 0x2fb7, -v79
	v_fmac_f16_e32 v66, 0x3b15, v12
	v_add_f16_e32 v38, v61, v38
	v_mul_f16_e32 v61, 0xbb7b, v57
	v_add_f16_e32 v24, v64, v24
	v_add_f16_e32 v68, v71, v68
	v_fmac_f16_e32 v70, 0xb5ac, v13
	v_mul_f16_e32 v71, 0x394e, v60
	v_fmamk_f16 v69, v7, 0xb5ac, v61
	v_add_f16_e32 v24, v66, v24
	v_mul_f16_e32 v45, 0xb5ac, v50
	v_mul_f16_e32 v72, 0x3770, v36
	;; [unrolled: 1-line block ×3, first 2 shown]
	v_add_f16_e32 v69, v0, v69
	v_add_f16_e32 v24, v70, v24
	v_fmamk_f16 v70, v10, 0xb9fd, v71
	v_fmamk_f16 v51, v8, 0x3b7b, v45
	v_mul_f16_e32 v74, 0xbbf1, v62
	v_fmamk_f16 v53, v1, 0xb94e, v58
	v_mul_f16_e32 v59, 0x3b15, v52
	v_add_f16_e32 v69, v70, v69
	v_fmamk_f16 v70, v6, 0x3b15, v72
	v_add_f16_e32 v51, v25, v51
	v_mul_f16_e32 v78, 0x33a8, v65
	v_mul_f16_e32 v64, 0x2fb7, v47
	;; [unrolled: 1-line block ×3, first 2 shown]
	v_add_f16_e32 v69, v70, v69
	v_fmamk_f16 v70, v11, 0x2fb7, v74
	v_add_f16_e32 v51, v53, v51
	v_fmamk_f16 v53, v9, 0xb770, v59
	v_mul_f16_e32 v81, 0xbbf1, v57
	v_fmac_f16_e32 v77, 0x2fb7, v13
	v_add_f16_e32 v69, v70, v69
	v_fmamk_f16 v70, v12, 0xbbc4, v78
	v_add_f16_e32 v51, v53, v51
	v_fmamk_f16 v53, v2, 0x3bf1, v64
	v_mul_f16_e32 v73, 0x2fb7, v50
	v_fmamk_f16 v84, v7, 0x2fb7, v81
	v_add_f16_e32 v69, v70, v69
	v_mul_f16_e32 v70, 0x3a95, v67
	v_add_f16_e32 v51, v53, v51
	v_fmamk_f16 v53, v3, 0xb3a8, v66
	v_mul_f16_e32 v85, 0xb3a8, v60
	v_add_f16_e32 v49, v77, v49
	v_fmamk_f16 v83, v13, 0x388b, v70
	v_fmamk_f16 v76, v8, 0x3bf1, v73
	v_add_f16_e32 v51, v53, v51
	v_mul_f16_e32 v53, 0x388b, v63
	v_mul_f16_e32 v77, 0xbbc4, v48
	v_add_f16_e32 v69, v83, v69
	v_add_f16_e32 v83, v0, v84
	v_fmamk_f16 v84, v10, 0xbbc4, v85
	v_mul_f16_e32 v86, 0x3b7b, v36
	v_fmamk_f16 v75, v4, 0xba95, v53
	v_add_f16_e32 v76, v25, v76
	v_fmamk_f16 v79, v1, 0x33a8, v77
	v_mul_f16_e32 v80, 0xb5ac, v52
	v_add_f16_e32 v83, v84, v83
	v_fmamk_f16 v84, v6, 0xb5ac, v86
	v_mul_f16_e32 v88, 0x3770, v62
	v_add_f16_e32 v51, v75, v51
	v_add_f16_e32 v75, v79, v76
	v_fmamk_f16 v76, v9, 0xbb7b, v80
	v_mul_f16_e32 v79, 0x3b15, v47
	v_add_f16_e32 v83, v84, v83
	v_fmamk_f16 v84, v11, 0x3b15, v88
	v_mul_f16_e32 v92, 0xba95, v65
	v_add_f16_e32 v75, v76, v75
	v_fmamk_f16 v76, v2, 0xb770, v79
	v_mul_f16_e32 v82, 0x388b, v54
	v_add_f16_e32 v83, v84, v83
	v_fmamk_f16 v84, v12, 0x388b, v92
	v_mul_f16_e32 v87, 0x388b, v50
	v_add_f16_e32 v75, v76, v75
	v_fmamk_f16 v76, v3, 0x3a95, v82
	v_mul_f16_e32 v95, 0xba95, v57
	v_add_f16_e32 v83, v84, v83
	v_mul_f16_e32 v84, 0xb94e, v67
	v_fmamk_f16 v90, v8, 0x3a95, v87
	v_add_f16_e32 v75, v76, v75
	v_mul_f16_e32 v76, 0xb9fd, v63
	v_mul_f16_e32 v91, 0xb5ac, v48
	v_fmamk_f16 v97, v13, 0xb9fd, v84
	v_fmamk_f16 v98, v7, 0x388b, v95
	v_mul_f16_e32 v99, 0xbb7b, v60
	v_fmamk_f16 v89, v4, 0x394e, v76
	v_add_f16_e32 v90, v25, v90
	v_fmamk_f16 v93, v1, 0x3b7b, v91
	v_mul_f16_e32 v94, 0xbbc4, v52
	v_add_f16_e32 v83, v97, v83
	v_add_f16_e32 v97, v0, v98
	v_fmamk_f16 v98, v10, 0xb5ac, v99
	v_mul_f16_e32 v100, 0xb3a8, v36
	v_add_f16_e32 v75, v89, v75
	v_add_f16_e32 v89, v93, v90
	v_fmamk_f16 v90, v9, 0x33a8, v94
	v_mul_f16_e32 v93, 0xb9fd, v47
	v_mul_f16_e32 v50, 0x3b15, v50
	v_add_f16_e32 v97, v98, v97
	v_fmamk_f16 v98, v6, 0xbbc4, v100
	v_mul_f16_e32 v101, 0x394e, v62
	v_add_f16_e32 v89, v90, v89
	v_fmamk_f16 v90, v2, 0xb94e, v93
	v_mul_f16_e32 v96, 0x2fb7, v54
	v_fmamk_f16 v103, v8, 0x3770, v50
	v_mul_f16_e32 v48, 0x388b, v48
	v_add_f16_e32 v97, v98, v97
	v_fmamk_f16 v98, v11, 0xb9fd, v101
	v_mul_f16_e32 v104, 0x3bf1, v65
	v_add_f16_e32 v89, v90, v89
	v_fmamk_f16 v90, v3, 0xbbf1, v96
	v_add_f16_e32 v103, v25, v103
	v_fmamk_f16 v105, v1, 0x3a95, v48
	v_mul_f16_e32 v52, 0x2fb7, v52
	v_add_f16_e32 v97, v98, v97
	v_fmamk_f16 v98, v12, 0x2fb7, v104
	v_mul_f16_e32 v106, 0x3770, v67
	v_add_f16_e32 v28, v0, v28
	v_add_f16_e32 v89, v90, v89
	v_mul_f16_e32 v90, 0x3b15, v63
	v_add_f16_e32 v103, v105, v103
	v_fmamk_f16 v105, v9, 0x3bf1, v52
	v_mul_f16_e32 v47, 0xb5ac, v47
	v_add_f16_e32 v97, v98, v97
	v_fmamk_f16 v98, v13, 0x3b15, v106
	v_mul_f16_e32 v57, 0xb770, v57
	v_add_f16_e32 v28, v30, v28
	v_add_f16_e32 v29, v29, v25
	v_fmamk_f16 v102, v4, 0xb770, v90
	v_add_f16_e32 v103, v105, v103
	v_fmamk_f16 v105, v2, 0x3b7b, v47
	;; [unrolled: 2-line block ×3, first 2 shown]
	v_mul_f16_e32 v60, 0xba95, v60
	v_add_f16_e32 v28, v33, v28
	v_add_f16_e32 v29, v41, v29
	;; [unrolled: 1-line block ×5, first 2 shown]
	v_fmamk_f16 v103, v10, 0x388b, v60
	v_mul_f16_e32 v36, 0xbbf1, v36
	v_add_f16_e32 v28, v43, v28
	v_add_f16_e32 v29, v42, v29
	v_mul_f16_e32 v62, 0xbb7b, v62
	v_add_f16_e32 v30, v103, v98
	v_fmamk_f16 v98, v6, 0x2fb7, v36
	v_add_f16_e32 v28, v40, v28
	v_add_f16_e32 v29, v39, v29
	v_fmamk_f16 v41, v11, 0xb5ac, v62
	v_mul_f16_e32 v42, 0xb94e, v65
	v_add_f16_e32 v30, v98, v30
	v_add_f16_e32 v28, v55, v28
	;; [unrolled: 1-line block ×3, first 2 shown]
	v_mul_f16_e32 v40, 0xb3a8, v67
	v_fmamk_f16 v39, v12, 0xb9fd, v42
	v_add_f16_e32 v30, v41, v30
	v_add_f16_e32 v28, v56, v28
	;; [unrolled: 1-line block ×3, first 2 shown]
	v_fmac_f16_e32 v45, 0xbb7b, v8
	v_fmac_f16_e32 v58, 0x394e, v1
	v_add_f16_e32 v30, v39, v30
	v_fmamk_f16 v39, v13, 0xbbc4, v40
	v_add_f16_e32 v28, v34, v28
	v_add_f16_e32 v29, v35, v29
	v_add_f16_e32 v34, v25, v45
	v_fmac_f16_e32 v59, 0x3770, v9
	v_add_f16_e32 v30, v39, v30
	v_fma_f16 v39, v7, 0xb5ac, -v61
	v_add_f16_e32 v21, v21, v28
	v_add_f16_e32 v28, v37, v29
	v_add_f16_e32 v29, v58, v34
	v_fmac_f16_e32 v64, 0xbbf1, v2
	v_add_f16_e32 v35, v0, v39
	v_fma_f16 v39, v10, 0xb9fd, -v71
	;; [unrolled: 6-line block ×3, first 2 shown]
	v_add_f16_e32 v18, v18, v20
	v_add_f16_e32 v20, v64, v22
	v_fma_f16 v29, v11, 0x2fb7, -v74
	v_fmac_f16_e32 v53, 0x3a95, v4
	v_add_f16_e32 v28, v35, v34
	v_add_f16_e32 v14, v14, v18
	;; [unrolled: 1-line block ×4, first 2 shown]
	v_fma_f16 v27, v12, 0xbbc4, -v78
	v_add_f16_e32 v22, v29, v28
	v_add_f16_e32 v14, v15, v14
	;; [unrolled: 1-line block ×3, first 2 shown]
	v_fma_f16 v18, v7, 0x2fb7, -v81
	v_fmac_f16_e32 v87, 0xba95, v8
	v_add_f16_e32 v21, v26, v21
	v_add_f16_e32 v20, v27, v22
	v_fma_f16 v26, v10, 0xbbc4, -v85
	v_add_f16_e32 v18, v0, v18
	v_add_f16_e32 v27, v25, v87
	v_fmac_f16_e32 v91, 0xbb7b, v1
	v_fmac_f16_e32 v94, 0xb3a8, v9
	;; [unrolled: 1-line block ×3, first 2 shown]
	v_add_f16_e32 v18, v26, v18
	v_fma_f16 v26, v6, 0xb5ac, -v86
	v_add_f16_e32 v27, v91, v27
	v_fmac_f16_e32 v96, 0x3bf1, v3
	v_fma_f16 v22, v13, 0x388b, -v70
	v_fmac_f16_e32 v73, 0xbbf1, v8
	v_add_f16_e32 v18, v26, v18
	v_fma_f16 v26, v11, 0x3b15, -v88
	v_add_f16_e32 v27, v94, v27
	v_fmac_f16_e32 v90, 0x3770, v4
	v_fma_f16 v28, v7, 0x388b, -v95
	v_fmac_f16_e32 v50, 0xb770, v8
	v_add_f16_e32 v18, v26, v18
	v_fma_f16 v26, v12, 0x388b, -v92
	v_add_f16_e32 v27, v93, v27
	v_fma_f16 v7, v7, 0x3b15, -v57
	v_add_f16_e32 v20, v22, v20
	v_add_f16_e32 v22, v25, v73
	;; [unrolled: 1-line block ×3, first 2 shown]
	v_fma_f16 v26, v13, 0xb9fd, -v84
	v_add_f16_e32 v27, v96, v27
	v_fmac_f16_e32 v77, 0xb3a8, v1
	v_add_f16_e32 v25, v25, v50
	v_fmac_f16_e32 v48, 0xba95, v1
	v_add_f16_e32 v18, v26, v18
	v_add_f16_e32 v8, v90, v27
	;; [unrolled: 1-line block ×3, first 2 shown]
	v_fma_f16 v27, v10, 0xb5ac, -v99
	v_add_f16_e32 v0, v0, v7
	v_fma_f16 v1, v10, 0x388b, -v60
	v_mul_f16_e32 v54, 0xb9fd, v54
	v_add_f16_e32 v22, v77, v22
	v_fmac_f16_e32 v80, 0x3b7b, v9
	v_add_f16_e32 v7, v27, v26
	v_fma_f16 v10, v6, 0xbbc4, -v100
	v_add_f16_e32 v25, v48, v25
	v_fmac_f16_e32 v52, 0xbbf1, v9
	v_add_f16_e32 v0, v1, v0
	v_fma_f16 v1, v6, 0x2fb7, -v36
	v_fmamk_f16 v105, v3, 0x394e, v54
	v_mul_f16_e32 v43, 0xbbc4, v63
	v_add_f16_e32 v22, v80, v22
	v_fmac_f16_e32 v79, 0x3770, v2
	v_add_f16_e32 v6, v10, v7
	v_fma_f16 v7, v11, 0xb9fd, -v101
	v_add_f16_e32 v9, v52, v25
	v_fmac_f16_e32 v47, 0xbb7b, v2
	v_add_f16_e32 v0, v1, v0
	v_fma_f16 v1, v11, 0xb5ac, -v62
	v_add_f16_e32 v33, v105, v102
	v_fmamk_f16 v41, v4, 0x33a8, v43
	v_add_f16_e32 v22, v79, v22
	v_fmac_f16_e32 v82, 0xba95, v3
	v_add_f16_e32 v2, v7, v6
	v_fma_f16 v6, v12, 0x2fb7, -v104
	v_add_f16_e32 v7, v47, v9
	v_fmac_f16_e32 v54, 0xb94e, v3
	v_add_f16_e32 v0, v1, v0
	v_fma_f16 v1, v12, 0xb9fd, -v42
	v_add_f16_e32 v33, v41, v33
	v_add_f16_e32 v22, v82, v22
	v_fmac_f16_e32 v76, 0xb94e, v4
	v_add_f16_e32 v2, v6, v2
	v_fma_f16 v3, v13, 0x3b15, -v106
	v_add_f16_e32 v6, v54, v7
	v_fmac_f16_e32 v43, 0xb3a8, v4
	v_add_f16_e32 v0, v1, v0
	v_fma_f16 v1, v13, 0xbbc4, -v40
	v_pack_b32_f16 v4, v21, v14
	v_pack_b32_f16 v7, v30, v33
	;; [unrolled: 1-line block ×4, first 2 shown]
	v_add_f16_e32 v22, v76, v22
	v_add_f16_e32 v2, v3, v2
	;; [unrolled: 1-line block ×4, first 2 shown]
	ds_store_2addr_b32 v31, v4, v7 offset1:63
	ds_store_2addr_b32 v31, v9, v10 offset0:126 offset1:189
	v_pack_b32_f16 v1, v69, v51
	v_pack_b32_f16 v4, v24, v38
	v_add_nc_u32_e32 v6, 0x200, v31
	v_pack_b32_f16 v7, v49, v68
	v_pack_b32_f16 v9, v23, v19
	v_add_nc_u32_e32 v10, 0x400, v31
	;; [unrolled: 3-line block ×4, first 2 shown]
	v_pack_b32_f16 v0, v0, v3
	ds_store_2addr_b32 v6, v1, v4 offset0:124 offset1:187
	ds_store_2addr_b32 v10, v7, v9 offset0:122 offset1:185
	;; [unrolled: 1-line block ×4, first 2 shown]
	ds_store_b32 v31, v0 offset:3024
.LBB0_21:
	s_wait_alu 0xfffe
	s_or_b32 exec_lo, exec_lo, s1
	global_wb scope:SCOPE_SE
	s_wait_dscnt 0x0
	s_barrier_signal -1
	s_barrier_wait -1
	global_inv scope:SCOPE_SE
	s_and_b32 exec_lo, exec_lo, vcc_lo
	s_cbranch_execz .LBB0_23
; %bb.22:
	s_clause 0x6
	global_load_b32 v0, v31, s[14:15]
	global_load_b32 v1, v31, s[14:15] offset:364
	global_load_b32 v17, v31, s[14:15] offset:728
	;; [unrolled: 1-line block ×6, first 2 shown]
	v_mad_co_u64_u32 v[4:5], null, s6, v16, 0
	v_mad_co_u64_u32 v[6:7], null, s4, v32, 0
	ds_load_b32 v18, v31
	v_add_nc_u32_e32 v2, 0x400, v31
	v_add_nc_u32_e32 v3, 0x600, v31
	ds_load_2addr_b32 v[8:9], v31 offset0:91 offset1:182
	ds_load_2addr_b32 v[10:11], v2 offset0:17 offset1:108
	;; [unrolled: 1-line block ×3, first 2 shown]
	v_dual_mov_b32 v2, v5 :: v_dual_mov_b32 v3, v7
	s_mov_b32 s22, 0x14014014
	s_mov_b32 s23, 0x3f540140
	s_mul_u64 s[20:21], s[4:5], 0x16c
	s_delay_alu instid0(VALU_DEP_1) | instskip(SKIP_4) | instid1(VALU_DEP_4)
	v_mad_co_u64_u32 v[14:15], null, s7, v16, v[2:3]
	v_mad_co_u64_u32 v[2:3], null, s5, v32, v[3:4]
	v_add_nc_u32_e32 v3, 0x800, v31
	s_wait_dscnt 0x3
	v_lshrrev_b32_e32 v15, 16, v18
	v_mov_b32_e32 v5, v14
	s_wait_dscnt 0x2
	v_lshrrev_b32_e32 v16, 16, v8
	v_lshrrev_b32_e32 v19, 16, v9
	v_mov_b32_e32 v7, v2
	s_wait_dscnt 0x1
	v_lshrrev_b32_e32 v2, 16, v10
	v_lshrrev_b32_e32 v23, 16, v11
	s_wait_dscnt 0x0
	v_lshrrev_b32_e32 v41, 16, v13
	v_lshrrev_b32_e32 v24, 16, v12
	s_wait_loadcnt 0x6
	v_lshrrev_b32_e32 v14, 16, v0
	s_wait_loadcnt 0x5
	;; [unrolled: 2-line block ×5, first 2 shown]
	v_lshrrev_b32_e32 v28, 16, v21
	v_mul_f16_e32 v32, v15, v14
	v_mul_f16_e32 v14, v18, v14
	;; [unrolled: 1-line block ×5, first 2 shown]
	v_fmac_f16_e32 v32, v18, v0
	v_fma_f16 v0, v0, v15, -v14
	v_fmac_f16_e32 v33, v8, v1
	v_fma_f16 v14, v1, v16, -v25
	v_mul_f16_e32 v18, v9, v26
	v_cvt_f32_f16_e32 v8, v32
	v_cvt_f32_f16_e32 v15, v0
	;; [unrolled: 1-line block ×3, first 2 shown]
	v_fmac_f16_e32 v34, v9, v17
	v_cvt_f32_f16_e32 v32, v14
	v_cvt_f64_f32_e32 v[0:1], v8
	v_cvt_f64_f32_e32 v[8:9], v15
	;; [unrolled: 1-line block ×3, first 2 shown]
	v_mul_f16_e32 v26, v2, v27
	v_fma_f16 v18, v17, v19, -v18
	v_cvt_f32_f16_e32 v19, v34
	v_cvt_f64_f32_e32 v[16:17], v32
	s_wait_loadcnt 0x0
	v_lshrrev_b32_e32 v30, 16, v40
	v_mul_f16_e32 v27, v10, v27
	v_mul_f16_e32 v25, v23, v28
	v_fmac_f16_e32 v26, v10, v20
	v_cvt_f32_f16_e32 v10, v18
	v_cvt_f64_f32_e32 v[18:19], v19
	v_mul_f16_e32 v32, v41, v30
	v_lshrrev_b32_e32 v29, 16, v22
	v_mul_f16_e32 v28, v11, v28
	v_cvt_f32_f16_e32 v26, v26
	v_fma_f16 v2, v20, v2, -v27
	v_fmac_f16_e32 v25, v11, v21
	v_cvt_f64_f32_e32 v[10:11], v10
	v_fmac_f16_e32 v32, v13, v40
	v_mul_f16_e32 v33, v24, v29
	v_mul_f16_e32 v29, v12, v29
	v_fma_f16 v27, v21, v23, -v28
	v_cvt_f64_f32_e32 v[20:21], v26
	v_cvt_f32_f16_e32 v2, v2
	v_cvt_f32_f16_e32 v36, v32
	v_fmac_f16_e32 v33, v12, v22
	v_fma_f16 v12, v22, v24, -v29
	v_cvt_f32_f16_e32 v24, v25
	v_cvt_f64_f32_e32 v[22:23], v2
	v_cvt_f64_f32_e32 v[36:37], v36
	v_cvt_f32_f16_e32 v2, v27
	v_lshlrev_b64_e32 v[26:27], 2, v[4:5]
	v_cvt_f64_f32_e32 v[24:25], v24
	v_cvt_f32_f16_e32 v33, v33
	v_cvt_f32_f16_e32 v12, v12
	v_cvt_f64_f32_e32 v[28:29], v2
	v_mul_f64_e32 v[38:39], s[22:23], v[0:1]
	v_lshlrev_b64_e32 v[0:1], 2, v[6:7]
	v_mul_f64_e32 v[5:6], s[22:23], v[8:9]
	v_mul_f64_e32 v[7:8], s[22:23], v[14:15]
	v_cvt_f64_f32_e32 v[32:33], v33
	v_cvt_f64_f32_e32 v[34:35], v12
	v_mul_f64_e32 v[14:15], s[22:23], v[16:17]
	v_add_co_u32 v9, vcc_lo, s12, v26
	v_add_co_ci_u32_e32 v12, vcc_lo, s13, v27, vcc_lo
	s_clause 0x1
	global_load_b32 v2, v31, s[14:15] offset:2548
	global_load_b32 v4, v31, s[14:15] offset:2912
	v_mul_f64_e32 v[18:19], s[22:23], v[18:19]
	v_add_co_u32 v16, vcc_lo, v9, v0
	s_wait_alu 0xfffd
	v_add_co_ci_u32_e32 v17, vcc_lo, v12, v1, vcc_lo
	v_mul_f16_e32 v0, v13, v30
	s_delay_alu instid0(VALU_DEP_3)
	v_add_co_u32 v26, vcc_lo, v16, s20
	v_mul_f64_e32 v[9:10], s[22:23], v[10:11]
	s_wait_alu 0xfffd
	v_add_co_ci_u32_e32 v27, vcc_lo, s21, v17, vcc_lo
	v_fma_f16 v13, v40, v41, -v0
	v_mul_f64_e32 v[11:12], s[22:23], v[20:21]
	v_add_co_u32 v20, vcc_lo, v26, s20
	s_wait_alu 0xfffd
	v_add_co_ci_u32_e32 v21, vcc_lo, s21, v27, vcc_lo
	v_mul_f64_e32 v[22:23], s[22:23], v[22:23]
	v_mul_f64_e32 v[0:1], s[22:23], v[36:37]
	v_add_co_u32 v30, vcc_lo, v20, s20
	v_mul_f64_e32 v[24:25], s[22:23], v[24:25]
	s_wait_alu 0xfffd
	v_add_co_ci_u32_e32 v31, vcc_lo, s21, v21, vcc_lo
	v_mul_f64_e32 v[28:29], s[22:23], v[28:29]
	v_and_or_b32 v36, 0x1ff, v39, v38
	v_lshrrev_b32_e32 v37, 8, v39
	v_and_or_b32 v5, 0x1ff, v6, v5
	v_and_or_b32 v7, 0x1ff, v8, v7
	v_mul_f64_e32 v[32:33], s[22:23], v[32:33]
	v_cmp_ne_u32_e32 vcc_lo, 0, v36
	v_and_or_b32 v14, 0x1ff, v15, v14
	v_mul_f64_e32 v[34:35], s[22:23], v[34:35]
	v_bfe_u32 v38, v39, 20, 11
	v_bfe_u32 v41, v6, 20, 11
	s_wait_alu 0xfffd
	v_cndmask_b32_e64 v36, 0, 1, vcc_lo
	v_cmp_ne_u32_e32 vcc_lo, 0, v5
	v_and_or_b32 v18, 0x1ff, v19, v18
	v_lshrrev_b32_e32 v40, 8, v6
	v_sub_nc_u32_e32 v62, 0x3f1, v38
	v_and_or_b32 v36, 0xffe, v37, v36
	s_wait_alu 0xfffd
	v_cndmask_b32_e64 v5, 0, 1, vcc_lo
	v_cmp_ne_u32_e32 vcc_lo, 0, v7
	v_add_nc_u32_e32 v38, 0xfffffc10, v38
	v_sub_nc_u32_e32 v63, 0x3f1, v41
	v_and_or_b32 v9, 0x1ff, v10, v9
	v_med3_i32 v37, v62, 0, 13
	s_wait_alu 0xfffd
	v_cndmask_b32_e64 v7, 0, 1, vcc_lo
	v_cmp_ne_u32_e32 vcc_lo, 0, v14
	v_and_or_b32 v11, 0x1ff, v12, v11
	v_and_or_b32 v5, 0xffe, v40, v5
	v_med3_i32 v40, v63, 0, 13
	v_or_b32_e32 v62, 0x1000, v36
	s_wait_alu 0xfffd
	v_cndmask_b32_e64 v14, 0, 1, vcc_lo
	v_cmp_ne_u32_e32 vcc_lo, 0, v18
	v_and_or_b32 v22, 0x1ff, v23, v22
	v_lshl_or_b32 v63, v38, 12, v36
	v_lshrrev_b32_e32 v52, 8, v23
	v_bfe_u32 v53, v23, 20, 11
	s_wait_alu 0xfffd
	v_cndmask_b32_e64 v18, 0, 1, vcc_lo
	v_cmp_ne_u32_e32 vcc_lo, 0, v9
	v_and_or_b32 v24, 0x1ff, v25, v24
	v_and_or_b32 v28, 0x1ff, v29, v28
	v_lshrrev_b32_e32 v56, 8, v29
	v_bfe_u32 v57, v29, 20, 11
	s_wait_alu 0xfffd
	v_cndmask_b32_e64 v9, 0, 1, vcc_lo
	v_cmp_ne_u32_e32 vcc_lo, 0, v11
	v_and_or_b32 v32, 0x1ff, v33, v32
	v_lshrrev_b32_e32 v54, 8, v25
	v_bfe_u32 v55, v25, 20, 11
	v_and_or_b32 v34, 0x1ff, v35, v34
	s_wait_alu 0xfffd
	v_cndmask_b32_e64 v11, 0, 1, vcc_lo
	v_cmp_ne_u32_e32 vcc_lo, 0, v22
	v_sub_nc_u32_e32 v71, 0x3f1, v57
	v_sub_nc_u32_e32 v70, 0x3f1, v55
	v_lshrrev_b32_e32 v50, 8, v12
	v_bfe_u32 v51, v12, 20, 11
	s_wait_alu 0xfffd
	v_cndmask_b32_e64 v22, 0, 1, vcc_lo
	v_cmp_ne_u32_e32 vcc_lo, 0, v24
	v_sub_nc_u32_e32 v69, 0x3f1, v53
	v_lshrrev_b32_e32 v48, 8, v10
	v_bfe_u32 v49, v10, 20, 11
	v_and_or_b32 v22, 0xffe, v52, v22
	s_wait_alu 0xfffd
	v_cndmask_b32_e64 v24, 0, 1, vcc_lo
	v_cmp_ne_u32_e32 vcc_lo, 0, v28
	v_sub_nc_u32_e32 v68, 0x3f1, v51
	v_and_or_b32 v11, 0xffe, v50, v11
	v_lshrrev_b32_e32 v46, 8, v19
	v_and_or_b32 v24, 0xffe, v54, v24
	s_wait_alu 0xfffd
	v_cndmask_b32_e64 v28, 0, 1, vcc_lo
	v_cmp_ne_u32_e32 vcc_lo, 0, v32
	v_bfe_u32 v47, v19, 20, 11
	v_sub_nc_u32_e32 v67, 0x3f1, v49
	v_and_or_b32 v9, 0xffe, v48, v9
	v_and_or_b32 v28, 0xffe, v56, v28
	s_wait_alu 0xfffd
	v_cndmask_b32_e64 v32, 0, 1, vcc_lo
	v_cmp_ne_u32_e32 vcc_lo, 0, v34
	v_lshrrev_b32_e32 v44, 8, v15
	v_bfe_u32 v45, v15, 20, 11
	v_sub_nc_u32_e32 v66, 0x3f1, v47
	v_and_or_b32 v18, 0xffe, v46, v18
	s_wait_alu 0xfffd
	v_cndmask_b32_e64 v34, 0, 1, vcc_lo
	v_cmp_ne_u32_e32 vcc_lo, 0, v36
	v_lshrrev_b32_e32 v42, 8, v8
	v_bfe_u32 v43, v8, 20, 11
	v_sub_nc_u32_e32 v65, 0x3f1, v45
	v_and_or_b32 v14, 0xffe, v44, v14
	s_wait_alu 0xfffd
	v_cndmask_b32_e64 v36, 0, 1, vcc_lo
	v_med3_i32 v56, v71, 0, 13
	v_sub_nc_u32_e32 v64, 0x3f1, v43
	v_and_or_b32 v7, 0xffe, v42, v7
	v_med3_i32 v52, v69, 0, 13
	v_lshl_or_b32 v36, v36, 9, 0x7c00
	v_add_nc_u32_e32 v57, 0xfffffc10, v57
	v_med3_i32 v48, v67, 0, 13
	v_cmp_ne_u32_e32 vcc_lo, 0, v5
	v_med3_i32 v42, v64, 0, 13
	v_med3_i32 v44, v65, 0, 13
	v_lshl_or_b32 v81, v57, 12, v28
	v_add_nc_u32_e32 v55, 0xfffffc10, v55
	v_or_b32_e32 v64, 0x1000, v5
	v_med3_i32 v46, v66, 0, 13
	v_or_b32_e32 v66, 0x1000, v7
	v_bfe_u32 v59, v33, 20, 11
	v_lshl_or_b32 v79, v55, 12, v24
	v_add_nc_u32_e32 v53, 0xfffffc10, v53
	v_med3_i32 v50, v68, 0, 13
	v_or_b32_e32 v68, 0x1000, v14
	v_lshrrev_b32_e32 v58, 8, v33
	v_sub_nc_u32_e32 v72, 0x3f1, v59
	v_lshl_or_b32 v77, v53, 12, v22
	v_add_nc_u32_e32 v51, 0xfffffc10, v51
	v_med3_i32 v54, v70, 0, 13
	v_or_b32_e32 v70, 0x1000, v18
	v_and_or_b32 v32, 0xffe, v58, v32
	v_med3_i32 v58, v72, 0, 13
	v_lshl_or_b32 v75, v51, 12, v11
	v_add_nc_u32_e32 v49, 0xfffffc10, v49
	v_or_b32_e32 v72, 0x1000, v9
	v_or_b32_e32 v74, 0x1000, v11
	;; [unrolled: 1-line block ×3, first 2 shown]
	v_lshrrev_b32_e32 v83, v37, v62
	v_lshl_or_b32 v73, v49, 12, v9
	v_add_nc_u32_e32 v47, 0xfffffc10, v47
	v_or_b32_e32 v78, 0x1000, v24
	v_lshrrev_b32_e32 v84, v40, v64
	v_lshlrev_b32_e32 v37, v37, v83
	v_or_b32_e32 v80, 0x1000, v28
	v_lshl_or_b32 v71, v47, 12, v18
	v_add_nc_u32_e32 v45, 0xfffffc10, v45
	v_lshrrev_b32_e32 v85, v42, v66
	v_lshlrev_b32_e32 v40, v40, v84
	v_lshrrev_b32_e32 v86, v44, v68
	v_lshrrev_b32_e32 v87, v46, v70
	v_lshl_or_b32 v69, v45, 12, v14
	v_add_nc_u32_e32 v43, 0xfffffc10, v43
	v_lshlrev_b32_e32 v42, v42, v85
	v_lshrrev_b32_e32 v88, v48, v72
	v_lshlrev_b32_e32 v46, v46, v87
	v_lshrrev_b32_e32 v89, v50, v74
	v_lshl_or_b32 v67, v43, 12, v7
	v_add_nc_u32_e32 v41, 0xfffffc10, v41
	v_lshrrev_b32_e32 v90, v52, v76
	v_lshrrev_b32_e32 v91, v54, v78
	v_lshlrev_b32_e32 v50, v50, v89
	v_or_b32_e32 v82, 0x1000, v32
	v_lshl_or_b32 v65, v41, 12, v5
	s_wait_alu 0xfffd
	v_cndmask_b32_e64 v5, 0, 1, vcc_lo
	v_cmp_ne_u32_e32 vcc_lo, 0, v7
	v_lshrrev_b32_e32 v92, v56, v80
	v_lshrrev_b32_e32 v93, v58, v82
	;; [unrolled: 1-line block ×3, first 2 shown]
	v_lshl_or_b32 v5, v5, 9, 0x7c00
	s_wait_alu 0xfffd
	v_cndmask_b32_e64 v7, 0, 1, vcc_lo
	v_cmp_ne_u32_e32 vcc_lo, 0, v14
	v_lshlrev_b32_e32 v54, v54, v91
	v_lshlrev_b32_e32 v56, v56, v92
	v_lshlrev_b32_e32 v58, v58, v93
	v_lshl_or_b32 v7, v7, 9, 0x7c00
	s_wait_alu 0xfffd
	v_cndmask_b32_e64 v14, 0, 1, vcc_lo
	v_cmp_ne_u32_e32 vcc_lo, 0, v18
	v_lshlrev_b32_e32 v48, v48, v88
	v_lshrrev_b32_e32 v6, 16, v6
	v_lshrrev_b32_e32 v8, 16, v8
	v_lshl_or_b32 v14, v14, 9, 0x7c00
	s_wait_alu 0xfffd
	v_cndmask_b32_e64 v18, 0, 1, vcc_lo
	v_cmp_ne_u32_e32 vcc_lo, 0, v9
	v_lshrrev_b32_e32 v10, 16, v10
	v_lshrrev_b32_e32 v12, 16, v12
	;; [unrolled: 1-line block ×3, first 2 shown]
	v_lshl_or_b32 v18, v18, 9, 0x7c00
	s_wait_alu 0xfffd
	v_cndmask_b32_e64 v9, 0, 1, vcc_lo
	v_cmp_ne_u32_e32 vcc_lo, 0, v11
	v_lshrrev_b32_e32 v19, 16, v19
	v_lshrrev_b32_e32 v23, 16, v23
	;; [unrolled: 1-line block ×3, first 2 shown]
	v_lshl_or_b32 v9, v9, 9, 0x7c00
	s_wait_alu 0xfffd
	v_cndmask_b32_e64 v11, 0, 1, vcc_lo
	v_cmp_ne_u32_e32 vcc_lo, 0, v22
	v_bfe_u32 v61, v35, 20, 11
	v_lshrrev_b32_e32 v25, 16, v25
	v_lshrrev_b32_e32 v29, 16, v29
	v_lshl_or_b32 v11, v11, 9, 0x7c00
	s_wait_alu 0xfffd
	v_cndmask_b32_e64 v22, 0, 1, vcc_lo
	v_cmp_ne_u32_e32 vcc_lo, 0, v24
	v_lshlrev_b32_e32 v52, v52, v90
	v_and_or_b32 v0, 0x1ff, v1, v0
	s_delay_alu instid0(VALU_DEP_4) | instskip(SKIP_3) | instid1(VALU_DEP_2)
	v_lshl_or_b32 v22, v22, 9, 0x7c00
	s_wait_alu 0xfffd
	v_cndmask_b32_e64 v24, 0, 1, vcc_lo
	v_cmp_ne_u32_e32 vcc_lo, 0, v28
	v_lshl_or_b32 v24, v24, 9, 0x7c00
	s_wait_alu 0xfffd
	v_cndmask_b32_e64 v28, 0, 1, vcc_lo
	v_cmp_ne_u32_e32 vcc_lo, v37, v62
	s_delay_alu instid0(VALU_DEP_2) | instskip(SKIP_3) | instid1(VALU_DEP_2)
	v_lshl_or_b32 v28, v28, 9, 0x7c00
	s_wait_alu 0xfffd
	v_cndmask_b32_e64 v37, 0, 1, vcc_lo
	v_cmp_ne_u32_e32 vcc_lo, v40, v64
	v_or_b32_e32 v37, v83, v37
	v_lshlrev_b32_e32 v44, v44, v86
	s_wait_alu 0xfffd
	v_cndmask_b32_e64 v40, 0, 1, vcc_lo
	v_cmp_ne_u32_e32 vcc_lo, v42, v66
	s_delay_alu instid0(VALU_DEP_2) | instskip(SKIP_3) | instid1(VALU_DEP_2)
	v_or_b32_e32 v40, v84, v40
	s_wait_alu 0xfffd
	v_cndmask_b32_e64 v42, 0, 1, vcc_lo
	v_cmp_ne_u32_e32 vcc_lo, v44, v68
	v_or_b32_e32 v42, v85, v42
	s_wait_alu 0xfffd
	v_cndmask_b32_e64 v44, 0, 1, vcc_lo
	v_cmp_ne_u32_e32 vcc_lo, v46, v70
	s_delay_alu instid0(VALU_DEP_2) | instskip(SKIP_3) | instid1(VALU_DEP_2)
	v_or_b32_e32 v44, v86, v44
	s_wait_alu 0xfffd
	v_cndmask_b32_e64 v46, 0, 1, vcc_lo
	v_cmp_ne_u32_e32 vcc_lo, v48, v72
	v_or_b32_e32 v46, v87, v46
	;; [unrolled: 9-line block ×4, first 2 shown]
	s_wait_alu 0xfffd
	v_cndmask_b32_e64 v56, 0, 1, vcc_lo
	v_cmp_ne_u32_e32 vcc_lo, v58, v82
	s_delay_alu instid0(VALU_DEP_2)
	v_or_b32_e32 v56, v92, v56
	s_wait_alu 0xfffd
	v_cndmask_b32_e64 v58, 0, 1, vcc_lo
	v_cmp_gt_i32_e32 vcc_lo, 1, v38
	s_wait_alu 0xfffd
	v_cndmask_b32_e32 v37, v63, v37, vcc_lo
	v_cmp_gt_i32_e32 vcc_lo, 1, v41
	s_delay_alu instid0(VALU_DEP_2)
	v_and_b32_e32 v62, 7, v37
	s_wait_alu 0xfffd
	v_cndmask_b32_e32 v40, v65, v40, vcc_lo
	v_cmp_gt_i32_e32 vcc_lo, 1, v43
	v_lshrrev_b32_e32 v37, 2, v37
	v_cmp_eq_u32_e64 s0, 3, v62
	s_wait_alu 0xfffd
	v_dual_cndmask_b32 v42, v67, v42 :: v_dual_and_b32 v63, 7, v40
	v_cmp_gt_i32_e32 vcc_lo, 1, v45
	v_lshrrev_b32_e32 v40, 2, v40
	s_delay_alu instid0(VALU_DEP_3) | instskip(NEXT) | instid1(VALU_DEP_4)
	v_cmp_lt_i32_e64 s1, 5, v63
	v_and_b32_e32 v64, 7, v42
	s_wait_alu 0xfffd
	v_cndmask_b32_e32 v44, v69, v44, vcc_lo
	v_cmp_gt_i32_e32 vcc_lo, 1, v47
	v_cmp_eq_u32_e64 s2, 3, v63
	v_lshrrev_b32_e32 v42, 2, v42
	v_cmp_lt_i32_e64 s3, 5, v64
	s_wait_alu 0xfffd
	v_dual_cndmask_b32 v46, v71, v46 :: v_dual_and_b32 v65, 7, v44
	v_cmp_gt_i32_e32 vcc_lo, 1, v49
	v_cmp_eq_u32_e64 s4, 3, v64
	v_lshrrev_b32_e32 v44, 2, v44
	s_delay_alu instid0(VALU_DEP_4)
	v_cmp_lt_i32_e64 s5, 5, v65
	v_and_b32_e32 v66, 7, v46
	s_wait_alu 0xfffd
	v_cndmask_b32_e32 v48, v73, v48, vcc_lo
	v_cmp_gt_i32_e32 vcc_lo, 1, v51
	v_cmp_eq_u32_e64 s6, 3, v65
	v_lshrrev_b32_e32 v46, 2, v46
	v_cmp_lt_i32_e64 s7, 5, v66
	s_wait_alu 0xfffd
	v_dual_cndmask_b32 v50, v75, v50 :: v_dual_and_b32 v67, 7, v48
	v_cmp_gt_i32_e32 vcc_lo, 1, v53
	v_cmp_eq_u32_e64 s8, 3, v66
	v_lshrrev_b32_e32 v48, 2, v48
	s_delay_alu instid0(VALU_DEP_4)
	;; [unrolled: 14-line block ×3, first 2 shown]
	v_cmp_lt_i32_e64 s13, 5, v69
	v_and_b32_e32 v70, 7, v54
	s_wait_alu 0xfffd
	v_cndmask_b32_e32 v56, v81, v56, vcc_lo
	v_cmp_lt_i32_e32 vcc_lo, 5, v62
	v_cmp_eq_u32_e64 s14, 3, v69
	v_lshrrev_b32_e32 v54, 2, v54
	v_cmp_lt_i32_e64 s15, 5, v70
	v_and_b32_e32 v71, 7, v56
	s_or_b32 vcc_lo, s0, vcc_lo
	v_cmp_eq_u32_e64 s16, 3, v70
	s_wait_alu 0xfffe
	v_add_co_ci_u32_e32 v37, vcc_lo, 0, v37, vcc_lo
	s_or_b32 vcc_lo, s2, s1
	v_cmp_lt_i32_e64 s17, 5, v71
	s_wait_alu 0xfffe
	v_add_co_ci_u32_e32 v40, vcc_lo, 0, v40, vcc_lo
	s_or_b32 vcc_lo, s4, s3
	v_cmp_eq_u32_e64 s18, 3, v71
	s_wait_alu 0xfffe
	v_add_co_ci_u32_e32 v42, vcc_lo, 0, v42, vcc_lo
	s_or_b32 vcc_lo, s6, s5
	v_lshrrev_b32_e32 v56, 2, v56
	s_wait_alu 0xfffe
	v_add_co_ci_u32_e32 v44, vcc_lo, 0, v44, vcc_lo
	s_or_b32 vcc_lo, s8, s7
	s_wait_alu 0xfffe
	v_add_co_ci_u32_e32 v46, vcc_lo, 0, v46, vcc_lo
	s_or_b32 vcc_lo, s10, s9
	;; [unrolled: 3-line block ×6, first 2 shown]
	s_wait_alu 0xfffe
	v_add_co_ci_u32_e32 v56, vcc_lo, 0, v56, vcc_lo
	v_cmp_gt_i32_e32 vcc_lo, 31, v38
	s_wait_alu 0xfffd
	v_cndmask_b32_e32 v37, 0x7c00, v37, vcc_lo
	v_cmp_gt_i32_e32 vcc_lo, 31, v41
	s_wait_alu 0xfffd
	v_cndmask_b32_e32 v40, 0x7c00, v40, vcc_lo
	;; [unrolled: 3-line block ×10, first 2 shown]
	v_cmp_eq_u32_e32 vcc_lo, 0x40f, v38
	s_wait_alu 0xfffd
	v_cndmask_b32_e32 v36, v37, v36, vcc_lo
	v_cmp_eq_u32_e32 vcc_lo, 0x40f, v41
	s_delay_alu instid0(VALU_DEP_2) | instskip(SKIP_3) | instid1(VALU_DEP_2)
	v_and_or_b32 v36, 0x8000, v39, v36
	s_wait_alu 0xfffd
	v_cndmask_b32_e32 v5, v40, v5, vcc_lo
	v_cmp_eq_u32_e32 vcc_lo, 0x40f, v43
	v_and_or_b32 v5, 0x8000, v6, v5
	s_wait_alu 0xfffd
	v_cndmask_b32_e32 v7, v42, v7, vcc_lo
	v_cmp_eq_u32_e32 vcc_lo, 0x40f, v45
	v_add_nc_u32_e32 v59, 0xfffffc10, v59
	s_delay_alu instid0(VALU_DEP_3)
	v_and_or_b32 v6, 0x8000, v8, v7
	s_wait_alu 0xfffd
	v_cndmask_b32_e32 v14, v44, v14, vcc_lo
	v_cmp_eq_u32_e32 vcc_lo, 0x40f, v47
	v_cmp_eq_u32_e64 s1, 0x40f, v59
	v_and_b32_e32 v6, 0xffff, v6
	s_delay_alu instid0(VALU_DEP_4)
	v_and_or_b32 v7, 0x8000, v15, v14
	s_wait_alu 0xfffd
	v_cndmask_b32_e32 v18, v46, v18, vcc_lo
	v_cmp_eq_u32_e32 vcc_lo, 0x40f, v49
	v_and_or_b32 v14, 0xffe, v60, v34
	v_lshl_or_b32 v6, v7, 16, v6
	s_delay_alu instid0(VALU_DEP_4)
	v_and_or_b32 v8, 0x8000, v19, v18
	s_wait_alu 0xfffd
	v_cndmask_b32_e32 v9, v48, v9, vcc_lo
	v_cmp_eq_u32_e32 vcc_lo, 0x40f, v51
	v_sub_nc_u32_e32 v7, 0x3f1, v61
	s_wait_loadcnt 0x1
	v_lshrrev_b32_e32 v18, 16, v2
	v_and_b32_e32 v8, 0xffff, v8
	v_and_or_b32 v9, 0x8000, v10, v9
	s_wait_alu 0xfffd
	v_cndmask_b32_e32 v11, v50, v11, vcc_lo
	v_cmp_eq_u32_e32 vcc_lo, 0x40f, v53
	v_med3_i32 v15, v7, 0, 13
	v_lshl_or_b32 v9, v9, 16, v8
	s_delay_alu instid0(VALU_DEP_4)
	v_and_or_b32 v10, 0x8000, v12, v11
	s_wait_alu 0xfffd
	v_dual_cndmask_b32 v22, v52, v22 :: v_dual_and_b32 v11, 0xffff, v36
	v_cmp_eq_u32_e32 vcc_lo, 0x40f, v55
	v_cvt_f32_f16_e32 v8, v13
	v_and_b32_e32 v10, 0xffff, v10
	s_delay_alu instid0(VALU_DEP_4)
	v_and_or_b32 v12, 0x8000, v23, v22
	v_lshl_or_b32 v5, v5, 16, v11
	s_wait_alu 0xfffd
	v_cndmask_b32_e32 v24, v54, v24, vcc_lo
	v_cmp_eq_u32_e32 vcc_lo, 0x40f, v57
	s_clause 0x1
	global_store_b32 v[16:17], v5, off
	global_store_b32 v[26:27], v6, off
	v_lshl_or_b32 v10, v12, 16, v10
	s_wait_alu 0xfffd
	v_cndmask_b32_e32 v28, v56, v28, vcc_lo
	ds_load_2addr_b32 v[5:6], v3 offset0:125 offset1:216
	v_or_b32_e32 v3, v93, v58
	v_lshl_or_b32 v12, v59, 12, v32
	v_or_b32_e32 v13, 0x1000, v14
	v_cmp_gt_i32_e32 vcc_lo, 1, v59
	v_cvt_f64_f32_e32 v[7:8], v8
	v_and_or_b32 v11, 0x8000, v25, v24
	s_clause 0x1
	global_store_b32 v[20:21], v9, off
	global_store_b32 v[30:31], v10, off
	v_lshrrev_b32_e32 v20, 8, v1
	s_wait_alu 0xfffd
	v_cndmask_b32_e32 v3, v12, v3, vcc_lo
	v_lshrrev_b32_e32 v12, v15, v13
	v_and_b32_e32 v11, 0xffff, v11
	v_add_co_u32 v9, vcc_lo, v30, s20
	s_wait_alu 0xfffd
	v_add_co_ci_u32_e32 v10, vcc_lo, s21, v31, vcc_lo
	v_lshlrev_b32_e32 v15, v15, v12
	s_wait_dscnt 0x0
	v_lshrrev_b32_e32 v17, 16, v5
	s_delay_alu instid0(VALU_DEP_2) | instskip(SKIP_2) | instid1(VALU_DEP_4)
	v_cmp_ne_u32_e64 s0, v15, v13
	v_add_nc_u32_e32 v15, 0xfffffc10, v61
	v_and_or_b32 v16, 0x8000, v29, v28
	v_mul_f16_e32 v19, v17, v18
	s_wait_alu 0xf1ff
	v_cndmask_b32_e64 v13, 0, 1, s0
	s_delay_alu instid0(VALU_DEP_3) | instskip(SKIP_4) | instid1(VALU_DEP_4)
	v_lshl_or_b32 v16, v16, 16, v11
	v_and_b32_e32 v11, 7, v3
	v_lshrrev_b32_e32 v3, 2, v3
	v_fmac_f16_e32 v19, v5, v2
	v_mul_f16_e32 v5, v5, v18
	v_cmp_lt_i32_e32 vcc_lo, 5, v11
	v_cmp_eq_u32_e64 s0, 3, v11
	v_or_b32_e32 v11, v12, v13
	v_lshl_or_b32 v12, v15, 12, v14
	v_cvt_f32_f16_e32 v13, v19
	v_fma_f16 v2, v2, v17, -v5
	s_or_b32 vcc_lo, s0, vcc_lo
	s_wait_alu 0xfffe
	v_add_co_ci_u32_e32 v3, vcc_lo, 0, v3, vcc_lo
	v_cmp_gt_i32_e32 vcc_lo, 1, v15
	v_mul_f64_e32 v[7:8], s[22:23], v[7:8]
	v_cvt_f32_f16_e32 v2, v2
	s_wait_alu 0xfffd
	v_cndmask_b32_e32 v19, v12, v11, vcc_lo
	v_cmp_ne_u32_e32 vcc_lo, 0, v0
	v_cvt_f64_f32_e32 v[11:12], v13
	v_bfe_u32 v13, v1, 20, 11
	s_delay_alu instid0(VALU_DEP_4)
	v_and_b32_e32 v22, 7, v19
	s_wait_alu 0xfffd
	v_cndmask_b32_e64 v0, 0, 1, vcc_lo
	v_cmp_ne_u32_e32 vcc_lo, 0, v32
	v_lshrrev_b32_e32 v19, 2, v19
	v_cmp_eq_u32_e64 s0, 3, v22
	s_delay_alu instid0(VALU_DEP_4)
	v_and_or_b32 v0, 0xffe, v20, v0
	s_wait_alu 0xfffd
	v_cndmask_b32_e64 v21, 0, 1, vcc_lo
	v_cmp_gt_i32_e32 vcc_lo, 31, v59
	v_sub_nc_u32_e32 v20, 0x3f1, v13
	v_or_b32_e32 v23, 0x1000, v0
	s_delay_alu instid0(VALU_DEP_4)
	v_lshl_or_b32 v21, v21, 9, 0x7c00
	s_wait_alu 0xfffd
	v_cndmask_b32_e32 v3, 0x7c00, v3, vcc_lo
	v_cmp_lt_i32_e32 vcc_lo, 5, v22
	v_med3_i32 v20, v20, 0, 13
	v_lshrrev_b32_e32 v22, 16, v33
	s_delay_alu instid0(VALU_DEP_4) | instskip(SKIP_1) | instid1(VALU_DEP_3)
	v_cndmask_b32_e64 v3, v3, v21, s1
	s_or_b32 vcc_lo, s0, vcc_lo
	v_lshrrev_b32_e32 v21, v20, v23
	s_wait_alu 0xfffe
	v_add_co_ci_u32_e32 v19, vcc_lo, 0, v19, vcc_lo
	v_cmp_ne_u32_e32 vcc_lo, 0, v14
	v_and_or_b32 v22, 0x8000, v22, v3
	v_lshlrev_b32_e32 v20, v20, v21
	s_wait_alu 0xfffd
	v_cndmask_b32_e64 v14, 0, 1, vcc_lo
	v_cmp_gt_i32_e32 vcc_lo, 31, v15
	v_and_or_b32 v7, 0x1ff, v8, v7
	v_bfe_u32 v17, v8, 20, 11
	s_delay_alu instid0(VALU_DEP_4)
	v_lshl_or_b32 v14, v14, 9, 0x7c00
	s_wait_alu 0xfffd
	v_cndmask_b32_e32 v19, 0x7c00, v19, vcc_lo
	v_cmp_ne_u32_e32 vcc_lo, v20, v23
	v_add_nc_u32_e32 v23, 0xfffffc10, v13
	v_mul_f64_e32 v[11:12], s[22:23], v[11:12]
	s_wait_alu 0xfffd
	v_cndmask_b32_e64 v20, 0, 1, vcc_lo
	v_cmp_eq_u32_e32 vcc_lo, 0x40f, v15
	v_lshrrev_b32_e32 v15, 16, v35
	s_delay_alu instid0(VALU_DEP_3)
	v_or_b32_e32 v13, v21, v20
	s_wait_alu 0xfffd
	v_cndmask_b32_e32 v3, v19, v14, vcc_lo
	v_lshl_or_b32 v14, v23, 12, v0
	v_cmp_gt_i32_e32 vcc_lo, 1, v23
	v_lshrrev_b32_e32 v19, 16, v6
	s_wait_loadcnt 0x0
	v_lshrrev_b32_e32 v20, 16, v4
	s_wait_alu 0xfffd
	v_cndmask_b32_e32 v5, v14, v13, vcc_lo
	v_cmp_ne_u32_e32 vcc_lo, 0, v7
	v_lshrrev_b32_e32 v13, 8, v8
	v_and_or_b32 v14, 0x8000, v15, v3
	v_cvt_f64_f32_e32 v[2:3], v2
	v_and_b32_e32 v15, 7, v5
	s_wait_alu 0xfffd
	v_cndmask_b32_e64 v7, 0, 1, vcc_lo
	v_lshrrev_b32_e32 v5, 2, v5
	v_lshrrev_b32_e32 v8, 16, v8
	v_cmp_lt_i32_e32 vcc_lo, 5, v15
	s_delay_alu instid0(VALU_DEP_4)
	v_and_or_b32 v18, 0xffe, v13, v7
	v_sub_nc_u32_e32 v7, 0x3f1, v17
	v_and_b32_e32 v13, 0xffff, v22
	v_mul_f16_e32 v22, v19, v20
	v_cmp_eq_u32_e64 s0, 3, v15
	v_or_b32_e32 v21, 0x1000, v18
	v_med3_i32 v7, v7, 0, 13
	v_lshl_or_b32 v15, v14, 16, v13
	v_fmac_f16_e32 v22, v6, v4
	s_or_b32 vcc_lo, s0, vcc_lo
	v_mul_f16_e32 v6, v6, v20
	s_wait_alu 0xfffe
	v_add_co_ci_u32_e32 v5, vcc_lo, 0, v5, vcc_lo
	v_lshrrev_b32_e32 v24, v7, v21
	v_cmp_ne_u32_e32 vcc_lo, 0, v0
	v_cvt_f32_f16_e32 v13, v22
	v_bfe_u32 v20, v12, 20, 11
	v_fma_f16 v4, v4, v19, -v6
	v_lshlrev_b32_e32 v7, v7, v24
	s_wait_alu 0xfffd
	v_cndmask_b32_e64 v0, 0, 1, vcc_lo
	v_cmp_gt_i32_e32 vcc_lo, 31, v23
	v_cvt_f64_f32_e32 v[13:14], v13
	v_cvt_f32_f16_e32 v4, v4
	s_delay_alu instid0(VALU_DEP_4)
	v_lshl_or_b32 v0, v0, 9, 0x7c00
	s_wait_alu 0xfffd
	v_cndmask_b32_e32 v22, 0x7c00, v5, vcc_lo
	v_and_or_b32 v5, 0x1ff, v12, v11
	v_cmp_ne_u32_e32 vcc_lo, v7, v21
	v_add_nc_u32_e32 v11, 0xfffffc10, v17
	v_lshrrev_b32_e32 v17, 8, v12
	v_lshrrev_b32_e32 v12, 16, v12
	v_mul_f64_e32 v[2:3], s[22:23], v[2:3]
	s_wait_alu 0xfffd
	v_cndmask_b32_e64 v7, 0, 1, vcc_lo
	v_cmp_ne_u32_e32 vcc_lo, 0, v5
	v_lshl_or_b32 v6, v11, 12, v18
	s_delay_alu instid0(VALU_DEP_3) | instskip(SKIP_3) | instid1(VALU_DEP_2)
	v_or_b32_e32 v7, v24, v7
	s_wait_alu 0xfffd
	v_cndmask_b32_e64 v5, 0, 1, vcc_lo
	v_cmp_gt_i32_e32 vcc_lo, 1, v11
	v_and_or_b32 v17, 0xffe, v17, v5
	v_sub_nc_u32_e32 v5, 0x3f1, v20
	s_wait_alu 0xfffd
	v_cndmask_b32_e32 v6, v6, v7, vcc_lo
	v_cmp_eq_u32_e32 vcc_lo, 0x40f, v23
	v_add_nc_u32_e32 v20, 0xfffffc10, v20
	v_or_b32_e32 v7, 0x1000, v17
	v_med3_i32 v19, v5, 0, 13
	v_and_b32_e32 v23, 7, v6
	v_cvt_f64_f32_e32 v[4:5], v4
	s_wait_alu 0xfffd
	v_cndmask_b32_e32 v21, v22, v0, vcc_lo
	v_lshrrev_b32_e32 v22, 16, v1
	v_lshrrev_b32_e32 v24, v19, v7
	v_add_co_u32 v0, vcc_lo, v9, s20
	s_wait_alu 0xfffd
	v_add_co_ci_u32_e32 v1, vcc_lo, s21, v10, vcc_lo
	v_cmp_lt_i32_e32 vcc_lo, 5, v23
	v_cmp_eq_u32_e64 s0, 3, v23
	v_lshlrev_b32_e32 v19, v19, v24
	v_and_or_b32 v21, 0x8000, v22, v21
	v_lshrrev_b32_e32 v22, 2, v6
	s_delay_alu instid0(VALU_DEP_4) | instskip(NEXT) | instid1(VALU_DEP_3)
	s_or_b32 vcc_lo, s0, vcc_lo
	v_cmp_ne_u32_e64 s1, v19, v7
	v_mul_f64_e32 v[6:7], s[22:23], v[13:14]
	s_wait_alu 0xfffe
	v_add_co_ci_u32_e32 v13, vcc_lo, 0, v22, vcc_lo
	v_cmp_ne_u32_e32 vcc_lo, 0, v18
	s_wait_alu 0xf1ff
	v_cndmask_b32_e64 v19, 0, 1, s1
	v_and_or_b32 v2, 0x1ff, v3, v2
	s_wait_alu 0xfffd
	v_cndmask_b32_e64 v14, 0, 1, vcc_lo
	v_cmp_gt_i32_e32 vcc_lo, 31, v11
	v_or_b32_e32 v18, v24, v19
	v_lshl_or_b32 v19, v20, 12, v17
	s_delay_alu instid0(VALU_DEP_4)
	v_lshl_or_b32 v14, v14, 9, 0x7c00
	s_wait_alu 0xfffd
	v_cndmask_b32_e32 v13, 0x7c00, v13, vcc_lo
	v_cmp_gt_i32_e32 vcc_lo, 1, v20
	s_wait_alu 0xfffd
	v_cndmask_b32_e32 v18, v19, v18, vcc_lo
	v_cmp_eq_u32_e32 vcc_lo, 0x40f, v11
	v_mul_f64_e32 v[4:5], s[22:23], v[4:5]
	v_bfe_u32 v19, v3, 20, 11
	s_wait_alu 0xfffd
	v_cndmask_b32_e32 v11, v13, v14, vcc_lo
	v_cmp_ne_u32_e32 vcc_lo, 0, v2
	v_and_b32_e32 v13, 7, v18
	v_lshrrev_b32_e32 v14, 8, v3
	v_lshrrev_b32_e32 v3, 16, v3
	v_and_or_b32 v8, 0x8000, v8, v11
	v_and_b32_e32 v11, 0xffff, v21
	s_wait_alu 0xfffd
	v_cndmask_b32_e64 v2, 0, 1, vcc_lo
	v_cmp_lt_i32_e32 vcc_lo, 5, v13
	v_cmp_eq_u32_e64 s0, 3, v13
	v_lshl_or_b32 v8, v8, 16, v11
	v_lshrrev_b32_e32 v11, 2, v18
	v_and_or_b32 v2, 0xffe, v14, v2
	v_sub_nc_u32_e32 v14, 0x3f1, v19
	s_or_b32 vcc_lo, s0, vcc_lo
	v_and_or_b32 v6, 0x1ff, v7, v6
	s_wait_alu 0xfffe
	v_add_co_ci_u32_e32 v11, vcc_lo, 0, v11, vcc_lo
	v_or_b32_e32 v13, 0x1000, v2
	v_med3_i32 v14, v14, 0, 13
	v_cmp_ne_u32_e32 vcc_lo, 0, v17
	v_lshrrev_b32_e32 v21, 8, v7
	v_bfe_u32 v22, v7, 20, 11
	v_lshrrev_b32_e32 v7, 16, v7
	v_lshrrev_b32_e32 v18, v14, v13
	s_wait_alu 0xfffd
	v_cndmask_b32_e64 v17, 0, 1, vcc_lo
	v_cmp_gt_i32_e32 vcc_lo, 31, v20
	s_delay_alu instid0(VALU_DEP_3) | instskip(NEXT) | instid1(VALU_DEP_3)
	v_lshlrev_b32_e32 v14, v14, v18
	v_lshl_or_b32 v17, v17, 9, 0x7c00
	s_wait_alu 0xfffd
	v_cndmask_b32_e32 v11, 0x7c00, v11, vcc_lo
	v_cmp_ne_u32_e32 vcc_lo, 0, v6
	v_and_or_b32 v4, 0x1ff, v5, v4
	s_wait_alu 0xfffd
	v_cndmask_b32_e64 v6, 0, 1, vcc_lo
	v_cmp_ne_u32_e32 vcc_lo, v14, v13
	v_add_nc_u32_e32 v14, 0xfffffc10, v19
	v_sub_nc_u32_e32 v19, 0x3f1, v22
	s_delay_alu instid0(VALU_DEP_4)
	v_and_or_b32 v6, 0xffe, v21, v6
	s_wait_alu 0xfffd
	v_cndmask_b32_e64 v13, 0, 1, vcc_lo
	v_cmp_eq_u32_e32 vcc_lo, 0x40f, v20
	v_med3_i32 v19, v19, 0, 13
	v_lshrrev_b32_e32 v20, 8, v5
	v_bfe_u32 v21, v5, 20, 11
	v_or_b32_e32 v13, v18, v13
	s_wait_alu 0xfffd
	v_cndmask_b32_e32 v11, v11, v17, vcc_lo
	v_lshl_or_b32 v17, v14, 12, v2
	v_or_b32_e32 v18, 0x1000, v6
	v_cmp_gt_i32_e32 vcc_lo, 1, v14
	v_lshrrev_b32_e32 v5, 16, v5
	v_and_or_b32 v11, 0x8000, v12, v11
	v_sub_nc_u32_e32 v12, 0x3f1, v21
	s_wait_alu 0xfffd
	v_cndmask_b32_e32 v13, v17, v13, vcc_lo
	v_lshrrev_b32_e32 v17, v19, v18
	v_cmp_ne_u32_e32 vcc_lo, 0, v4
	v_med3_i32 v12, v12, 0, 13
	v_and_b32_e32 v11, 0xffff, v11
	v_and_b32_e32 v23, 7, v13
	v_lshlrev_b32_e32 v19, v19, v17
	s_wait_alu 0xfffd
	v_cndmask_b32_e64 v4, 0, 1, vcc_lo
	v_lshrrev_b32_e32 v13, 2, v13
	v_cmp_lt_i32_e32 vcc_lo, 5, v23
	v_cmp_ne_u32_e64 s0, v19, v18
	s_delay_alu instid0(VALU_DEP_4) | instskip(SKIP_2) | instid1(VALU_DEP_3)
	v_and_or_b32 v4, 0xffe, v20, v4
	v_add_nc_u32_e32 v20, 0xfffffc10, v22
	s_wait_alu 0xf1ff
	v_cndmask_b32_e64 v18, 0, 1, s0
	v_cmp_eq_u32_e64 s0, 3, v23
	v_or_b32_e32 v19, 0x1000, v4
	v_lshl_or_b32 v22, v20, 12, v6
	s_delay_alu instid0(VALU_DEP_4) | instskip(NEXT) | instid1(VALU_DEP_4)
	v_or_b32_e32 v17, v17, v18
	s_or_b32 vcc_lo, s0, vcc_lo
	s_delay_alu instid0(VALU_DEP_3)
	v_lshrrev_b32_e32 v18, v12, v19
	s_wait_alu 0xfffe
	v_add_co_ci_u32_e32 v13, vcc_lo, 0, v13, vcc_lo
	v_cmp_gt_i32_e32 vcc_lo, 1, v20
	s_wait_alu 0xfffd
	v_dual_cndmask_b32 v17, v22, v17 :: v_dual_lshlrev_b32 v12, v12, v18
	v_cmp_ne_u32_e32 vcc_lo, 0, v2
	s_wait_alu 0xfffd
	v_cndmask_b32_e64 v2, 0, 1, vcc_lo
	s_delay_alu instid0(VALU_DEP_3) | instskip(SKIP_2) | instid1(VALU_DEP_4)
	v_cmp_ne_u32_e32 vcc_lo, v12, v19
	v_add_nc_u32_e32 v19, 0xfffffc10, v21
	v_and_b32_e32 v21, 7, v17
	v_lshl_or_b32 v2, v2, 9, 0x7c00
	s_wait_alu 0xfffd
	v_cndmask_b32_e64 v12, 0, 1, vcc_lo
	v_cmp_gt_i32_e32 vcc_lo, 31, v14
	v_cmp_gt_i32_e64 s1, 1, v19
	v_cmp_eq_u32_e64 s0, 3, v21
	s_delay_alu instid0(VALU_DEP_4)
	v_or_b32_e32 v12, v18, v12
	v_lshl_or_b32 v18, v19, 12, v4
	s_wait_alu 0xfffd
	v_cndmask_b32_e32 v13, 0x7c00, v13, vcc_lo
	v_cmp_lt_i32_e32 vcc_lo, 5, v21
	s_wait_alu 0xf1ff
	v_cndmask_b32_e64 v12, v18, v12, s1
	v_cmp_eq_u32_e64 s1, 0x40f, v14
	s_or_b32 vcc_lo, s0, vcc_lo
	s_delay_alu instid0(VALU_DEP_2) | instskip(NEXT) | instid1(VALU_DEP_2)
	v_and_b32_e32 v14, 7, v12
	v_cndmask_b32_e64 v2, v13, v2, s1
	v_lshrrev_b32_e32 v13, 2, v17
	v_lshrrev_b32_e32 v12, 2, v12
	v_cmp_gt_i32_e64 s1, 31, v20
	v_cmp_eq_u32_e64 s0, 3, v14
	s_wait_alu 0xfffe
	v_add_co_ci_u32_e32 v13, vcc_lo, 0, v13, vcc_lo
	v_cmp_ne_u32_e32 vcc_lo, 0, v6
	s_wait_alu 0xf1ff
	s_delay_alu instid0(VALU_DEP_2) | instskip(SKIP_3) | instid1(VALU_DEP_2)
	v_cndmask_b32_e64 v13, 0x7c00, v13, s1
	s_wait_alu 0xfffd
	v_cndmask_b32_e64 v6, 0, 1, vcc_lo
	v_cmp_lt_i32_e32 vcc_lo, 5, v14
	v_lshl_or_b32 v6, v6, 9, 0x7c00
	s_or_b32 vcc_lo, s0, vcc_lo
	s_wait_alu 0xfffe
	v_add_co_ci_u32_e32 v12, vcc_lo, 0, v12, vcc_lo
	v_cmp_ne_u32_e32 vcc_lo, 0, v4
	s_wait_alu 0xfffd
	v_cndmask_b32_e64 v4, 0, 1, vcc_lo
	v_cmp_eq_u32_e32 vcc_lo, 0x40f, v20
	s_delay_alu instid0(VALU_DEP_2) | instskip(SKIP_4) | instid1(VALU_DEP_3)
	v_lshl_or_b32 v4, v4, 9, 0x7c00
	s_wait_alu 0xfffd
	v_cndmask_b32_e32 v6, v13, v6, vcc_lo
	v_cmp_gt_i32_e32 vcc_lo, 31, v19
	v_and_or_b32 v13, 0x8000, v3, v2
	v_and_or_b32 v6, 0x8000, v7, v6
	s_wait_alu 0xfffd
	v_cndmask_b32_e32 v12, 0x7c00, v12, vcc_lo
	v_cmp_eq_u32_e32 vcc_lo, 0x40f, v19
	v_lshl_or_b32 v11, v13, 16, v11
	v_and_b32_e32 v6, 0xffff, v6
	s_wait_alu 0xfffd
	v_cndmask_b32_e32 v4, v12, v4, vcc_lo
	v_add_co_u32 v2, vcc_lo, v0, s20
	s_wait_alu 0xfffd
	v_add_co_ci_u32_e32 v3, vcc_lo, s21, v1, vcc_lo
	s_delay_alu instid0(VALU_DEP_3) | instskip(NEXT) | instid1(VALU_DEP_3)
	v_and_or_b32 v7, 0x8000, v5, v4
	v_add_co_u32 v4, vcc_lo, v2, s20
	s_wait_alu 0xfffd
	s_delay_alu instid0(VALU_DEP_3) | instskip(NEXT) | instid1(VALU_DEP_3)
	v_add_co_ci_u32_e32 v5, vcc_lo, s21, v3, vcc_lo
	v_lshl_or_b32 v12, v7, 16, v6
	s_delay_alu instid0(VALU_DEP_3) | instskip(SKIP_1) | instid1(VALU_DEP_3)
	v_add_co_u32 v6, vcc_lo, v4, s20
	s_wait_alu 0xfffd
	v_add_co_ci_u32_e32 v7, vcc_lo, s21, v5, vcc_lo
	global_store_b32 v[9:10], v16, off
	global_store_b32 v[0:1], v15, off
	;; [unrolled: 1-line block ×5, first 2 shown]
.LBB0_23:
	s_nop 0
	s_sendmsg sendmsg(MSG_DEALLOC_VGPRS)
	s_endpgm
	.section	.rodata,"a",@progbits
	.p2align	6, 0x0
	.amdhsa_kernel bluestein_single_back_len819_dim1_half_op_CI_CI
		.amdhsa_group_segment_fixed_size 3276
		.amdhsa_private_segment_fixed_size 0
		.amdhsa_kernarg_size 104
		.amdhsa_user_sgpr_count 2
		.amdhsa_user_sgpr_dispatch_ptr 0
		.amdhsa_user_sgpr_queue_ptr 0
		.amdhsa_user_sgpr_kernarg_segment_ptr 1
		.amdhsa_user_sgpr_dispatch_id 0
		.amdhsa_user_sgpr_private_segment_size 0
		.amdhsa_wavefront_size32 1
		.amdhsa_uses_dynamic_stack 0
		.amdhsa_enable_private_segment 0
		.amdhsa_system_sgpr_workgroup_id_x 1
		.amdhsa_system_sgpr_workgroup_id_y 0
		.amdhsa_system_sgpr_workgroup_id_z 0
		.amdhsa_system_sgpr_workgroup_info 0
		.amdhsa_system_vgpr_workitem_id 0
		.amdhsa_next_free_vgpr 180
		.amdhsa_next_free_sgpr 24
		.amdhsa_reserve_vcc 1
		.amdhsa_float_round_mode_32 0
		.amdhsa_float_round_mode_16_64 0
		.amdhsa_float_denorm_mode_32 3
		.amdhsa_float_denorm_mode_16_64 3
		.amdhsa_fp16_overflow 0
		.amdhsa_workgroup_processor_mode 1
		.amdhsa_memory_ordered 1
		.amdhsa_forward_progress 0
		.amdhsa_round_robin_scheduling 0
		.amdhsa_exception_fp_ieee_invalid_op 0
		.amdhsa_exception_fp_denorm_src 0
		.amdhsa_exception_fp_ieee_div_zero 0
		.amdhsa_exception_fp_ieee_overflow 0
		.amdhsa_exception_fp_ieee_underflow 0
		.amdhsa_exception_fp_ieee_inexact 0
		.amdhsa_exception_int_div_zero 0
	.end_amdhsa_kernel
	.text
.Lfunc_end0:
	.size	bluestein_single_back_len819_dim1_half_op_CI_CI, .Lfunc_end0-bluestein_single_back_len819_dim1_half_op_CI_CI
                                        ; -- End function
	.section	.AMDGPU.csdata,"",@progbits
; Kernel info:
; codeLenInByte = 18872
; NumSgprs: 26
; NumVgprs: 180
; ScratchSize: 0
; MemoryBound: 0
; FloatMode: 240
; IeeeMode: 1
; LDSByteSize: 3276 bytes/workgroup (compile time only)
; SGPRBlocks: 3
; VGPRBlocks: 22
; NumSGPRsForWavesPerEU: 26
; NumVGPRsForWavesPerEU: 180
; Occupancy: 8
; WaveLimiterHint : 1
; COMPUTE_PGM_RSRC2:SCRATCH_EN: 0
; COMPUTE_PGM_RSRC2:USER_SGPR: 2
; COMPUTE_PGM_RSRC2:TRAP_HANDLER: 0
; COMPUTE_PGM_RSRC2:TGID_X_EN: 1
; COMPUTE_PGM_RSRC2:TGID_Y_EN: 0
; COMPUTE_PGM_RSRC2:TGID_Z_EN: 0
; COMPUTE_PGM_RSRC2:TIDIG_COMP_CNT: 0
	.text
	.p2alignl 7, 3214868480
	.fill 96, 4, 3214868480
	.type	__hip_cuid_5148dec8a4ddf799,@object ; @__hip_cuid_5148dec8a4ddf799
	.section	.bss,"aw",@nobits
	.globl	__hip_cuid_5148dec8a4ddf799
__hip_cuid_5148dec8a4ddf799:
	.byte	0                               ; 0x0
	.size	__hip_cuid_5148dec8a4ddf799, 1

	.ident	"AMD clang version 19.0.0git (https://github.com/RadeonOpenCompute/llvm-project roc-6.4.0 25133 c7fe45cf4b819c5991fe208aaa96edf142730f1d)"
	.section	".note.GNU-stack","",@progbits
	.addrsig
	.addrsig_sym __hip_cuid_5148dec8a4ddf799
	.amdgpu_metadata
---
amdhsa.kernels:
  - .args:
      - .actual_access:  read_only
        .address_space:  global
        .offset:         0
        .size:           8
        .value_kind:     global_buffer
      - .actual_access:  read_only
        .address_space:  global
        .offset:         8
        .size:           8
        .value_kind:     global_buffer
      - .actual_access:  read_only
        .address_space:  global
        .offset:         16
        .size:           8
        .value_kind:     global_buffer
      - .actual_access:  read_only
        .address_space:  global
        .offset:         24
        .size:           8
        .value_kind:     global_buffer
      - .actual_access:  read_only
        .address_space:  global
        .offset:         32
        .size:           8
        .value_kind:     global_buffer
      - .offset:         40
        .size:           8
        .value_kind:     by_value
      - .address_space:  global
        .offset:         48
        .size:           8
        .value_kind:     global_buffer
      - .address_space:  global
        .offset:         56
        .size:           8
        .value_kind:     global_buffer
      - .address_space:  global
        .offset:         64
        .size:           8
        .value_kind:     global_buffer
      - .address_space:  global
        .offset:         72
        .size:           8
        .value_kind:     global_buffer
      - .offset:         80
        .size:           4
        .value_kind:     by_value
      - .address_space:  global
        .offset:         88
        .size:           8
        .value_kind:     global_buffer
      - .address_space:  global
        .offset:         96
        .size:           8
        .value_kind:     global_buffer
    .group_segment_fixed_size: 3276
    .kernarg_segment_align: 8
    .kernarg_segment_size: 104
    .language:       OpenCL C
    .language_version:
      - 2
      - 0
    .max_flat_workgroup_size: 117
    .name:           bluestein_single_back_len819_dim1_half_op_CI_CI
    .private_segment_fixed_size: 0
    .sgpr_count:     26
    .sgpr_spill_count: 0
    .symbol:         bluestein_single_back_len819_dim1_half_op_CI_CI.kd
    .uniform_work_group_size: 1
    .uses_dynamic_stack: false
    .vgpr_count:     180
    .vgpr_spill_count: 0
    .wavefront_size: 32
    .workgroup_processor_mode: 1
amdhsa.target:   amdgcn-amd-amdhsa--gfx1201
amdhsa.version:
  - 1
  - 2
...

	.end_amdgpu_metadata
